;; amdgpu-corpus repo=ROCm/rocFFT kind=compiled arch=gfx1201 opt=O3
	.text
	.amdgcn_target "amdgcn-amd-amdhsa--gfx1201"
	.amdhsa_code_object_version 6
	.protected	bluestein_single_back_len4096_dim1_sp_op_CI_CI ; -- Begin function bluestein_single_back_len4096_dim1_sp_op_CI_CI
	.globl	bluestein_single_back_len4096_dim1_sp_op_CI_CI
	.p2align	8
	.type	bluestein_single_back_len4096_dim1_sp_op_CI_CI,@function
bluestein_single_back_len4096_dim1_sp_op_CI_CI: ; @bluestein_single_back_len4096_dim1_sp_op_CI_CI
; %bb.0:
	s_load_b128 s[12:15], s[0:1], 0x28
	s_mov_b32 s2, ttmp9
	s_mov_b32 s3, 0
	s_mov_b32 s5, exec_lo
	s_wait_kmcnt 0x0
	v_cmpx_lt_u64_e64 s[2:3], s[12:13]
	s_cbranch_execz .LBB0_2
; %bb.1:
	s_load_b128 s[4:7], s[0:1], 0x18
	v_dual_mov_b32 v90, s3 :: v_dual_mov_b32 v89, s2
	v_lshlrev_b32_e32 v138, 3, v0
	s_wait_kmcnt 0x0
	s_load_b128 s[16:19], s[4:5], 0x0
	s_clause 0x1
	s_load_b128 s[8:11], s[0:1], 0x0
	s_load_b64 s[0:1], s[0:1], 0x38
	s_wait_kmcnt 0x0
	s_clause 0x1
	global_load_b64 v[57:58], v138, s[8:9]
	global_load_b64 v[59:60], v138, s[8:9] offset:2048
	v_mad_co_u64_u32 v[1:2], null, s18, v89, 0
	v_mad_co_u64_u32 v[3:4], null, s16, v0, 0
	s_lshl_b64 s[2:3], s[16:17], 11
	s_clause 0xa
	global_load_b64 v[61:62], v138, s[8:9] offset:4096
	global_load_b64 v[63:64], v138, s[8:9] offset:6144
	;; [unrolled: 1-line block ×11, first 2 shown]
	v_mad_co_u64_u32 v[96:97], null, 0x78, v0, s[10:11]
	v_mad_co_u64_u32 v[5:6], null, s19, v89, v[2:3]
	s_delay_alu instid0(VALU_DEP_1) | instskip(SKIP_1) | instid1(VALU_DEP_1)
	v_mad_co_u64_u32 v[6:7], null, s17, v0, v[4:5]
	v_mov_b32_e32 v2, v5
	v_lshlrev_b64_e32 v[1:2], 3, v[1:2]
	s_delay_alu instid0(VALU_DEP_3) | instskip(NEXT) | instid1(VALU_DEP_1)
	v_mov_b32_e32 v4, v6
	v_lshlrev_b64_e32 v[3:4], 3, v[3:4]
	s_delay_alu instid0(VALU_DEP_3) | instskip(NEXT) | instid1(VALU_DEP_4)
	v_add_co_u32 v1, vcc_lo, s14, v1
	v_add_co_ci_u32_e32 v2, vcc_lo, s15, v2, vcc_lo
	s_delay_alu instid0(VALU_DEP_2) | instskip(SKIP_1) | instid1(VALU_DEP_2)
	v_add_co_u32 v1, vcc_lo, v1, v3
	s_wait_alu 0xfffd
	v_add_co_ci_u32_e32 v2, vcc_lo, v2, v4, vcc_lo
	s_wait_alu 0xfffe
	s_delay_alu instid0(VALU_DEP_2) | instskip(SKIP_1) | instid1(VALU_DEP_2)
	v_add_co_u32 v3, vcc_lo, v1, s2
	s_wait_alu 0xfffd
	v_add_co_ci_u32_e32 v4, vcc_lo, s3, v2, vcc_lo
	global_load_b64 v[1:2], v[1:2], off
	v_add_co_u32 v5, vcc_lo, v3, s2
	s_wait_alu 0xfffd
	v_add_co_ci_u32_e32 v6, vcc_lo, s3, v4, vcc_lo
	global_load_b64 v[3:4], v[3:4], off
	;; [unrolled: 4-line block ×14, first 2 shown]
	v_add_co_u32 v31, vcc_lo, v29, s2
	s_wait_alu 0xfffd
	v_add_co_ci_u32_e32 v32, vcc_lo, s3, v30, vcc_lo
	s_add_nc_u64 s[2:3], s[8:9], 0x8000
	s_wait_loadcnt 0xd
	v_mul_f32_e32 v33, v2, v58
	s_clause 0x1
	global_load_b64 v[83:84], v138, s[8:9] offset:26624
	global_load_b64 v[85:86], v138, s[8:9] offset:28672
	global_load_b64 v[29:30], v[29:30], off
	global_load_b64 v[87:88], v138, s[8:9] offset:30720
	global_load_b64 v[31:32], v[31:32], off
	v_mul_f32_e32 v34, v1, v58
	s_load_b128 s[4:7], s[6:7], 0x0
	v_fmac_f32_e32 v33, v1, v57
	s_wait_loadcnt 0x11
	v_mul_f32_e32 v1, v4, v60
	s_wait_loadcnt 0x10
	v_mul_f32_e32 v35, v6, v62
	s_delay_alu instid0(VALU_DEP_2)
	v_fmac_f32_e32 v1, v3, v59
	v_fma_f32 v34, v2, v57, -v34
	v_mul_f32_e32 v2, v3, v60
	s_wait_loadcnt 0xf
	v_dual_mul_f32 v36, v5, v62 :: v_dual_mul_f32 v3, v8, v64
	v_fmac_f32_e32 v35, v5, v61
	s_delay_alu instid0(VALU_DEP_3) | instskip(SKIP_1) | instid1(VALU_DEP_4)
	v_fma_f32 v2, v4, v59, -v2
	v_mul_f32_e32 v4, v7, v64
	v_fma_f32 v36, v6, v61, -v36
	s_wait_loadcnt 0xe
	v_dual_fmac_f32 v3, v7, v63 :: v_dual_mul_f32 v6, v9, v66
	v_mul_f32_e32 v5, v10, v66
	v_fma_f32 v4, v8, v63, -v4
	s_wait_loadcnt 0xd
	v_mul_f32_e32 v7, v12, v68
	v_mul_f32_e32 v37, v11, v68
	v_fma_f32 v6, v10, v65, -v6
	ds_store_2addr_stride64_b64 v138, v[33:34], v[1:2] offset1:4
	ds_store_2addr_stride64_b64 v138, v[35:36], v[3:4] offset0:8 offset1:12
	s_wait_loadcnt 0xc
	v_dual_mul_f32 v2, v13, v70 :: v_dual_fmac_f32 v7, v11, v67
	v_fma_f32 v8, v12, v67, -v37
	s_wait_loadcnt 0xb
	v_dual_mul_f32 v1, v14, v70 :: v_dual_mul_f32 v4, v15, v72
	v_fmac_f32_e32 v5, v9, v65
	v_mul_f32_e32 v3, v16, v72
	v_fma_f32 v2, v14, v69, -v2
	s_delay_alu instid0(VALU_DEP_4)
	v_fma_f32 v4, v16, v71, -v4
	s_wait_loadcnt 0x8
	v_mul_f32_e32 v10, v21, v78
	ds_store_2addr_stride64_b64 v138, v[5:6], v[7:8] offset0:16 offset1:20
	v_mul_f32_e32 v5, v18, v74
	v_dual_mul_f32 v6, v17, v74 :: v_dual_mul_f32 v7, v20, v76
	v_dual_mul_f32 v8, v19, v76 :: v_dual_mul_f32 v9, v22, v78
	s_wait_loadcnt 0x7
	v_mul_f32_e32 v11, v24, v80
	v_dual_mul_f32 v12, v23, v80 :: v_dual_fmac_f32 v1, v13, v69
	s_wait_loadcnt 0x6
	v_mul_f32_e32 v13, v26, v82
	v_dual_mul_f32 v14, v25, v82 :: v_dual_fmac_f32 v3, v15, v71
	v_fma_f32 v6, v18, v73, -v6
	v_fmac_f32_e32 v7, v19, v75
	v_fma_f32 v8, v20, v75, -v8
	v_fmac_f32_e32 v9, v21, v77
	;; [unrolled: 2-line block ×4, first 2 shown]
	v_fma_f32 v14, v26, v81, -v14
	s_wait_loadcnt 0x2
	v_dual_mul_f32 v18, v29, v86 :: v_dual_mul_f32 v15, v28, v84
	v_mul_f32_e32 v16, v27, v84
	s_wait_loadcnt 0x0
	v_mul_f32_e32 v19, v32, v88
	v_dual_mul_f32 v20, v31, v88 :: v_dual_fmac_f32 v5, v17, v73
	v_mul_f32_e32 v17, v30, v86
	v_fmac_f32_e32 v15, v27, v83
	v_fma_f32 v16, v28, v83, -v16
	v_fma_f32 v18, v30, v85, -v18
	v_fmac_f32_e32 v19, v31, v87
	v_fmac_f32_e32 v17, v29, v85
	v_fma_f32 v20, v32, v87, -v20
	ds_store_2addr_stride64_b64 v138, v[1:2], v[3:4] offset0:24 offset1:28
	ds_store_2addr_stride64_b64 v138, v[5:6], v[7:8] offset0:32 offset1:36
	;; [unrolled: 1-line block ×5, first 2 shown]
	global_wb scope:SCOPE_SE
	s_wait_dscnt 0x0
	s_wait_kmcnt 0x0
	s_barrier_signal -1
	s_barrier_wait -1
	global_inv scope:SCOPE_SE
	ds_load_2addr_stride64_b64 v[1:4], v138 offset1:4
	ds_load_2addr_stride64_b64 v[5:8], v138 offset0:32 offset1:36
	ds_load_2addr_stride64_b64 v[9:12], v138 offset0:16 offset1:20
	;; [unrolled: 1-line block ×7, first 2 shown]
	global_wb scope:SCOPE_SE
	s_wait_dscnt 0x0
	s_barrier_signal -1
	s_barrier_wait -1
	global_inv scope:SCOPE_SE
	v_sub_f32_e32 v6, v2, v6
	v_sub_f32_e32 v8, v4, v8
	;; [unrolled: 1-line block ×5, first 2 shown]
	v_fma_f32 v2, v2, 2.0, -v6
	v_sub_f32_e32 v30, v26, v30
	v_fma_f32 v10, v10, 2.0, -v14
	v_sub_f32_e32 v32, v28, v32
	;; [unrolled: 2-line block ×3, first 2 shown]
	v_fma_f32 v26, v26, 2.0, -v30
	v_dual_sub_f32 v10, v2, v10 :: v_dual_sub_f32 v31, v27, v31
	v_fma_f32 v28, v28, 2.0, -v32
	v_fma_f32 v4, v4, 2.0, -v8
	s_delay_alu instid0(VALU_DEP_4) | instskip(NEXT) | instid1(VALU_DEP_4)
	v_sub_f32_e32 v26, v18, v26
	v_fma_f32 v40, v2, 2.0, -v10
	v_fma_f32 v27, v27, 2.0, -v31
	v_add_f32_e32 v31, v24, v31
	v_fma_f32 v20, v20, 2.0, -v24
	v_fma_f32 v2, v18, 2.0, -v26
	v_sub_f32_e32 v23, v19, v23
	v_sub_f32_e32 v5, v1, v5
	v_fma_f32 v24, v24, 2.0, -v31
	v_sub_f32_e32 v28, v20, v28
	v_fma_f32 v12, v12, 2.0, -v16
	v_sub_f32_e32 v32, v23, v32
	v_sub_f32_e32 v15, v11, v15
	v_fma_f32 v1, v1, 2.0, -v5
	v_fma_f32 v19, v19, 2.0, -v23
	v_sub_f32_e32 v12, v4, v12
	v_fma_f32 v23, v23, 2.0, -v32
	v_fma_f32 v11, v11, 2.0, -v15
	v_add_f32_e32 v15, v8, v15
	v_lshlrev_b32_e32 v139, 7, v0
	v_fma_f32 v18, v4, 2.0, -v12
	v_fma_f32 v4, v20, 2.0, -v28
	v_sub_f32_e32 v14, v5, v14
	v_fmamk_f32 v38, v31, 0x3f3504f3, v15
	v_fma_f32 v8, v8, 2.0, -v15
	v_sub_f32_e32 v29, v25, v29
	s_delay_alu instid0(VALU_DEP_4) | instskip(NEXT) | instid1(VALU_DEP_4)
	v_fma_f32 v5, v5, 2.0, -v14
	v_fmac_f32_e32 v38, 0x3f3504f3, v32
	s_delay_alu instid0(VALU_DEP_3) | instskip(SKIP_1) | instid1(VALU_DEP_1)
	v_fma_f32 v25, v25, 2.0, -v29
	v_add_f32_e32 v29, v22, v29
	v_fma_f32 v22, v22, 2.0, -v29
	v_sub_f32_e32 v13, v9, v13
	s_delay_alu instid0(VALU_DEP_1) | instskip(NEXT) | instid1(VALU_DEP_1)
	v_fma_f32 v9, v9, 2.0, -v13
	v_sub_f32_e32 v9, v1, v9
	s_delay_alu instid0(VALU_DEP_1) | instskip(NEXT) | instid1(VALU_DEP_1)
	v_dual_sub_f32 v7, v3, v7 :: v_dual_sub_f32 v26, v9, v26
	v_fma_f32 v3, v3, 2.0, -v7
	v_sub_f32_e32 v16, v7, v16
	s_delay_alu instid0(VALU_DEP_2) | instskip(SKIP_1) | instid1(VALU_DEP_3)
	v_sub_f32_e32 v11, v3, v11
	v_add_f32_e32 v13, v6, v13
	v_fmamk_f32 v37, v32, 0x3f3504f3, v16
	v_dual_sub_f32 v32, v40, v2 :: v_dual_sub_f32 v27, v19, v27
	s_delay_alu instid0(VALU_DEP_4) | instskip(NEXT) | instid1(VALU_DEP_4)
	v_sub_f32_e32 v28, v11, v28
	v_dual_fmamk_f32 v36, v29, 0x3f3504f3, v13 :: v_dual_and_b32 v33, 15, v0
	v_sub_f32_e32 v21, v17, v21
	s_delay_alu instid0(VALU_DEP_4) | instskip(SKIP_4) | instid1(VALU_DEP_4)
	v_fma_f32 v40, v40, 2.0, -v32
	v_fma_f32 v6, v6, 2.0, -v13
	v_fma_f32 v7, v7, 2.0, -v16
	v_mad_co_u64_u32 v[33:34], null, 0x78, v33, s[10:11]
	v_sub_f32_e32 v30, v21, v30
	v_fmamk_f32 v20, v22, 0xbf3504f3, v6
	s_delay_alu instid0(VALU_DEP_2)
	v_fmac_f32_e32 v36, 0x3f3504f3, v30
	v_fma_f32 v17, v17, 2.0, -v21
	v_fma_f32 v21, v21, 2.0, -v30
	v_fmamk_f32 v35, v30, 0x3f3504f3, v14
	v_fmamk_f32 v30, v24, 0xbf3504f3, v8
	v_fma_f32 v44, v13, 2.0, -v36
	v_sub_f32_e32 v25, v17, v25
	v_fmac_f32_e32 v20, 0x3f3504f3, v21
	s_delay_alu instid0(VALU_DEP_4) | instskip(SKIP_1) | instid1(VALU_DEP_4)
	v_fmac_f32_e32 v30, 0x3f3504f3, v23
	v_fma_f32 v39, v1, 2.0, -v9
	v_fma_f32 v1, v17, 2.0, -v25
	;; [unrolled: 1-line block ×4, first 2 shown]
	v_add_f32_e32 v25, v10, v25
	v_fmamk_f32 v19, v21, 0xbf3504f3, v5
	v_fma_f32 v41, v9, 2.0, -v26
	v_sub_f32_e32 v9, v18, v4
	v_fmamk_f32 v4, v38, 0x3f6c835e, v36
	v_fma_f32 v42, v10, 2.0, -v25
	v_dual_sub_f32 v10, v17, v3 :: v_dual_fmac_f32 v35, 0xbf3504f3, v29
	v_fmamk_f32 v29, v23, 0xbf3504f3, v7
	v_fmac_f32_e32 v37, 0xbf3504f3, v31
	v_fmac_f32_e32 v19, 0xbf3504f3, v22
	s_delay_alu instid0(VALU_DEP_4)
	v_fma_f32 v13, v17, 2.0, -v10
	v_add_f32_e32 v10, v32, v10
	v_add_f32_e32 v27, v12, v27
	v_fmac_f32_e32 v29, 0xbf3504f3, v24
	v_fma_f32 v43, v14, 2.0, -v35
	v_fma_f32 v23, v16, 2.0, -v37
	;; [unrolled: 1-line block ×4, first 2 shown]
	v_fmamk_f32 v12, v30, 0x3ec3ef15, v20
	v_fmamk_f32 v2, v27, 0x3f3504f3, v25
	v_fma_f32 v24, v15, 2.0, -v38
	v_fma_f32 v45, v5, 2.0, -v19
	;; [unrolled: 1-line block ×3, first 2 shown]
	v_sub_f32_e32 v31, v39, v1
	v_fma_f32 v47, v7, 2.0, -v29
	v_fmamk_f32 v8, v24, 0xbec3ef15, v44
	v_fma_f32 v21, v11, 2.0, -v28
	v_fmamk_f32 v16, v48, 0xbf6c835e, v46
	v_fmamk_f32 v1, v28, 0x3f3504f3, v26
	s_delay_alu instid0(VALU_DEP_4)
	v_dual_fmamk_f32 v3, v37, 0x3f6c835e, v35 :: v_dual_fmac_f32 v8, 0x3f6c835e, v23
	v_fmamk_f32 v11, v29, 0x3ec3ef15, v19
	v_dual_fmamk_f32 v5, v21, 0xbf3504f3, v41 :: v_dual_fmamk_f32 v6, v22, 0xbf3504f3, v42
	v_fmamk_f32 v7, v23, 0xbec3ef15, v43
	v_fma_f32 v39, v39, 2.0, -v31
	v_fmac_f32_e32 v4, 0x3ec3ef15, v37
	v_fma_f32 v14, v18, 2.0, -v9
	v_fmamk_f32 v15, v47, 0xbf6c835e, v45
	v_dual_sub_f32 v9, v31, v9 :: v_dual_fmac_f32 v16, 0x3ec3ef15, v47
	v_fmac_f32_e32 v1, 0xbf3504f3, v27
	v_fmac_f32_e32 v2, 0x3f3504f3, v28
	;; [unrolled: 1-line block ×8, first 2 shown]
	v_dual_sub_f32 v13, v39, v13 :: v_dual_sub_f32 v14, v40, v14
	v_fmac_f32_e32 v15, 0xbec3ef15, v48
	v_fma_f32 v17, v31, 2.0, -v9
	v_fma_f32 v18, v32, 2.0, -v10
	v_fma_f32 v21, v26, 2.0, -v1
	v_fma_f32 v22, v25, 2.0, -v2
	v_fma_f32 v23, v35, 2.0, -v3
	v_fma_f32 v24, v36, 2.0, -v4
	v_fma_f32 v19, v19, 2.0, -v11
	v_fma_f32 v20, v20, 2.0, -v12
	v_fma_f32 v25, v41, 2.0, -v5
	v_fma_f32 v26, v42, 2.0, -v6
	v_fma_f32 v27, v43, 2.0, -v7
	v_fma_f32 v28, v44, 2.0, -v8
	ds_store_b128 v139, v[1:4] offset:112
	v_fma_f32 v1, v39, 2.0, -v13
	v_fma_f32 v2, v40, 2.0, -v14
	;; [unrolled: 1-line block ×4, first 2 shown]
	ds_store_b128 v139, v[9:12] offset:96
	ds_store_b128 v139, v[21:24] offset:48
	ds_store_b128 v139, v[5:8] offset:80
	ds_store_b128 v139, v[17:20] offset:32
	ds_store_b128 v139, v[13:16] offset:64
	ds_store_b128 v139, v[25:28] offset:16
	ds_store_b128 v139, v[1:4]
	global_wb scope:SCOPE_SE
	s_wait_dscnt 0x0
	s_barrier_signal -1
	s_barrier_wait -1
	global_inv scope:SCOPE_SE
	s_clause 0x7
	global_load_b128 v[13:16], v[33:34], off
	global_load_b128 v[9:12], v[33:34], off offset:16
	global_load_b128 v[5:8], v[33:34], off offset:32
	;; [unrolled: 1-line block ×6, first 2 shown]
	global_load_b64 v[90:91], v[33:34], off offset:112
	ds_load_2addr_stride64_b64 v[29:32], v138 offset1:4
	ds_load_2addr_stride64_b64 v[33:36], v138 offset0:8 offset1:12
	v_lshl_or_b32 v37, v0, 4, v0
	s_wait_loadcnt_dscnt 0x700
	v_dual_mul_f32 v99, v31, v14 :: v_dual_mul_f32 v100, v34, v16
	v_dual_mul_f32 v98, v32, v14 :: v_dual_mul_f32 v101, v33, v16
	s_wait_loadcnt 0x6
	v_mul_f32_e32 v102, v36, v10
	s_delay_alu instid0(VALU_DEP_3)
	v_fmac_f32_e32 v99, v32, v13
	v_fma_f32 v32, v33, v15, -v100
	v_and_b32_e32 v41, 0xf0f, v37
	ds_load_2addr_stride64_b64 v[37:40], v138 offset0:16 offset1:20
	v_fmac_f32_e32 v101, v34, v15
	v_fma_f32 v33, v35, v9, -v102
	v_fma_f32 v31, v31, v13, -v98
	v_lshlrev_b32_e32 v140, 3, v41
	ds_load_2addr_stride64_b64 v[41:44], v138 offset0:24 offset1:28
	ds_load_2addr_stride64_b64 v[45:48], v138 offset0:32 offset1:36
	;; [unrolled: 1-line block ×5, first 2 shown]
	global_wb scope:SCOPE_SE
	s_wait_loadcnt_dscnt 0x0
	s_barrier_signal -1
	s_barrier_wait -1
	global_inv scope:SCOPE_SE
	v_mul_f32_e32 v104, v38, v12
	v_mul_f32_e32 v106, v40, v6
	;; [unrolled: 1-line block ×6, first 2 shown]
	s_delay_alu instid0(VALU_DEP_4)
	v_dual_mul_f32 v108, v42, v8 :: v_dual_fmac_f32 v115, v48, v25
	v_mul_f32_e32 v105, v37, v12
	v_fmac_f32_e32 v117, v50, v27
	v_mul_f32_e32 v103, v35, v10
	v_mul_f32_e32 v114, v48, v26
	;; [unrolled: 1-line block ×4, first 2 shown]
	v_dual_sub_f32 v48, v101, v117 :: v_dual_mul_f32 v111, v43, v2
	v_fmac_f32_e32 v121, v54, v23
	v_sub_f32_e32 v50, v99, v115
	v_fmac_f32_e32 v105, v38, v11
	v_fma_f32 v38, v45, v3, -v112
	v_mul_f32_e32 v110, v44, v2
	v_fmac_f32_e32 v103, v36, v9
	v_fma_f32 v35, v39, v5, -v106
	v_fma_f32 v36, v41, v7, -v108
	v_fmac_f32_e32 v111, v44, v1
	v_fma_f32 v44, v92, v19, -v124
	v_mul_f32_e32 v107, v39, v6
	v_fma_f32 v39, v47, v25, -v114
	v_sub_f32_e32 v38, v29, v38
	v_dual_sub_f32 v47, v105, v121 :: v_dual_mul_f32 v120, v54, v24
	v_mul_f32_e32 v118, v52, v22
	v_mul_f32_e32 v122, v56, v18
	;; [unrolled: 1-line block ×3, first 2 shown]
	s_delay_alu instid0(VALU_DEP_4)
	v_fma_f32 v54, v105, 2.0, -v47
	v_sub_f32_e32 v47, v38, v47
	v_mul_f32_e32 v119, v51, v22
	v_fma_f32 v34, v37, v11, -v104
	v_mul_f32_e32 v127, v94, v91
	v_fma_f32 v37, v43, v1, -v110
	v_fma_f32 v43, v55, v17, -v122
	v_fmac_f32_e32 v119, v52, v21
	v_mul_f32_e32 v109, v41, v8
	v_fma_f32 v41, v51, v21, -v118
	v_fmac_f32_e32 v127, v95, v90
	v_sub_f32_e32 v43, v35, v43
	v_sub_f32_e32 v52, v103, v119
	v_fmac_f32_e32 v109, v42, v7
	v_fma_f32 v42, v53, v23, -v120
	v_sub_f32_e32 v41, v33, v41
	v_sub_f32_e32 v53, v111, v127
	v_fma_f32 v35, v35, 2.0, -v43
	v_add_f32_e32 v43, v50, v43
	v_dual_sub_f32 v42, v34, v42 :: v_dual_mul_f32 v113, v45, v4
	v_fma_f32 v45, v94, v90, -v126
	v_fma_f32 v95, v111, 2.0, -v53
	v_sub_f32_e32 v53, v41, v53
	v_mul_f32_e32 v123, v55, v18
	v_fma_f32 v55, v101, 2.0, -v48
	v_sub_f32_e32 v45, v37, v45
	v_fma_f32 v29, v29, 2.0, -v38
	v_fma_f32 v34, v34, 2.0, -v42
	v_mul_f32_e32 v125, v92, v20
	v_sub_f32_e32 v44, v36, v44
	v_fma_f32 v37, v37, 2.0, -v45
	s_delay_alu instid0(VALU_DEP_4) | instskip(NEXT) | instid1(VALU_DEP_4)
	v_dual_add_f32 v45, v52, v45 :: v_dual_sub_f32 v34, v29, v34
	v_fmac_f32_e32 v125, v93, v19
	v_fmac_f32_e32 v123, v56, v17
	v_fma_f32 v36, v36, 2.0, -v44
	s_delay_alu instid0(VALU_DEP_4) | instskip(SKIP_3) | instid1(VALU_DEP_4)
	v_dual_fmamk_f32 v101, v45, 0x3f3504f3, v43 :: v_dual_add_f32 v44, v48, v44
	v_fma_f32 v33, v33, 2.0, -v41
	v_fma_f32 v38, v38, 2.0, -v47
	;; [unrolled: 1-line block ×3, first 2 shown]
	v_fmac_f32_e32 v101, 0x3f3504f3, v53
	v_sub_f32_e32 v39, v31, v39
	v_fma_f32 v48, v48, 2.0, -v44
	v_sub_f32_e32 v37, v33, v37
	s_delay_alu instid0(VALU_DEP_3) | instskip(NEXT) | instid1(VALU_DEP_1)
	v_fma_f32 v31, v31, 2.0, -v39
	v_sub_f32_e32 v35, v31, v35
	v_fmac_f32_e32 v107, v40, v5
	v_fma_f32 v40, v49, v27, -v116
	s_delay_alu instid0(VALU_DEP_1) | instskip(NEXT) | instid1(VALU_DEP_1)
	v_dual_sub_f32 v49, v109, v125 :: v_dual_sub_f32 v40, v32, v40
	v_fma_f32 v56, v109, 2.0, -v49
	s_delay_alu instid0(VALU_DEP_2) | instskip(SKIP_1) | instid1(VALU_DEP_3)
	v_sub_f32_e32 v49, v40, v49
	v_fma_f32 v32, v32, 2.0, -v40
	v_sub_f32_e32 v56, v55, v56
	s_delay_alu instid0(VALU_DEP_3) | instskip(SKIP_3) | instid1(VALU_DEP_3)
	v_fma_f32 v40, v40, 2.0, -v49
	v_fmac_f32_e32 v113, v46, v3
	v_fmamk_f32 v98, v49, 0x3f3504f3, v47
	v_sub_f32_e32 v36, v32, v36
	v_sub_f32_e32 v46, v30, v113
	s_delay_alu instid0(VALU_DEP_3) | instskip(SKIP_1) | instid1(VALU_DEP_4)
	v_fmac_f32_e32 v98, 0xbf3504f3, v44
	v_fma_f32 v94, v103, 2.0, -v52
	v_fma_f32 v29, v32, 2.0, -v36
	;; [unrolled: 1-line block ×3, first 2 shown]
	v_add_f32_e32 v42, v46, v42
	v_fma_f32 v30, v30, 2.0, -v46
	v_sub_f32_e32 v95, v94, v95
	v_fma_f32 v108, v47, 2.0, -v98
	s_delay_alu instid0(VALU_DEP_4) | instskip(NEXT) | instid1(VALU_DEP_4)
	v_fma_f32 v46, v46, 2.0, -v42
	v_sub_f32_e32 v54, v30, v54
	s_delay_alu instid0(VALU_DEP_4) | instskip(SKIP_1) | instid1(VALU_DEP_4)
	v_fma_f32 v32, v94, 2.0, -v95
	v_fmamk_f32 v94, v40, 0xbf3504f3, v38
	v_fmamk_f32 v104, v48, 0xbf3504f3, v46
	s_delay_alu instid0(VALU_DEP_4)
	v_fma_f32 v103, v30, 2.0, -v54
	v_fma_f32 v30, v55, 2.0, -v56
	v_sub_f32_e32 v56, v34, v56
	v_fma_f32 v92, v99, 2.0, -v50
	v_fmac_f32_e32 v104, 0x3f3504f3, v40
	v_dual_fmamk_f32 v99, v44, 0x3f3504f3, v42 :: v_dual_sub_f32 v44, v35, v95
	v_add_f32_e32 v105, v54, v36
	v_fmac_f32_e32 v94, 0xbf3504f3, v48
	s_delay_alu instid0(VALU_DEP_4)
	v_fma_f32 v110, v46, 2.0, -v104
	v_sub_f32_e32 v51, v107, v123
	v_fmac_f32_e32 v99, 0x3f3504f3, v49
	v_fma_f32 v54, v54, 2.0, -v105
	v_fma_f32 v55, v31, 2.0, -v35
	;; [unrolled: 1-line block ×7, first 2 shown]
	s_delay_alu instid0(VALU_DEP_4) | instskip(SKIP_1) | instid1(VALU_DEP_3)
	v_dual_sub_f32 v40, v55, v31 :: v_dual_sub_f32 v93, v92, v93
	v_fma_f32 v109, v42, 2.0, -v99
	v_dual_fmamk_f32 v33, v47, 0xbf3504f3, v107 :: v_dual_fmamk_f32 v106, v52, 0xbf3504f3, v50
	s_delay_alu instid0(VALU_DEP_3) | instskip(SKIP_1) | instid1(VALU_DEP_2)
	v_add_f32_e32 v95, v93, v37
	v_fma_f32 v92, v92, 2.0, -v93
	v_fma_f32 v48, v93, 2.0, -v95
	s_delay_alu instid0(VALU_DEP_2) | instskip(NEXT) | instid1(VALU_DEP_2)
	v_dual_sub_f32 v37, v92, v32 :: v_dual_fmamk_f32 v32, v101, 0x3f6c835e, v99
	v_dual_sub_f32 v51, v39, v51 :: v_dual_fmamk_f32 v34, v48, 0xbf3504f3, v54
	s_delay_alu instid0(VALU_DEP_2) | instskip(SKIP_1) | instid1(VALU_DEP_3)
	v_fma_f32 v42, v92, 2.0, -v37
	v_fmac_f32_e32 v33, 0xbf3504f3, v48
	v_fma_f32 v39, v39, 2.0, -v51
	v_fmamk_f32 v100, v53, 0x3f3504f3, v51
	v_fmac_f32_e32 v34, 0x3f3504f3, v47
	v_fma_f32 v41, v41, 2.0, -v53
	v_sub_f32_e32 v53, v103, v30
	v_fmamk_f32 v30, v95, 0x3f3504f3, v105
	v_fmac_f32_e32 v100, 0xbf3504f3, v45
	v_sub_f32_e32 v45, v102, v29
	v_fmamk_f32 v49, v41, 0xbf3504f3, v39
	v_fmac_f32_e32 v106, 0x3f3504f3, v41
	v_fmamk_f32 v29, v44, 0x3f3504f3, v56
	v_fma_f32 v51, v51, 2.0, -v100
	v_fmamk_f32 v31, v100, 0x3f6c835e, v98
	v_fmac_f32_e32 v49, 0xbf3504f3, v52
	v_fma_f32 v52, v43, 2.0, -v101
	v_fma_f32 v93, v102, 2.0, -v45
	;; [unrolled: 1-line block ×7, first 2 shown]
	v_dual_fmamk_f32 v35, v51, 0xbec3ef15, v108 :: v_dual_fmamk_f32 v36, v52, 0xbec3ef15, v109
	v_add_f32_e32 v38, v53, v40
	v_fmamk_f32 v39, v49, 0x3ec3ef15, v94
	v_fmamk_f32 v40, v106, 0x3ec3ef15, v104
	v_fmac_f32_e32 v29, 0xbf3504f3, v95
	v_fmac_f32_e32 v30, 0x3f3504f3, v44
	;; [unrolled: 1-line block ×4, first 2 shown]
	v_dual_fmamk_f32 v43, v55, 0xbf6c835e, v103 :: v_dual_fmamk_f32 v44, v92, 0xbf6c835e, v110
	v_fmac_f32_e32 v35, 0xbf6c835e, v52
	v_dual_fmac_f32 v36, 0x3f6c835e, v51 :: v_dual_sub_f32 v37, v45, v37
	v_fmac_f32_e32 v39, 0xbf6c835e, v106
	v_fmac_f32_e32 v40, 0x3f6c835e, v49
	v_dual_sub_f32 v41, v93, v41 :: v_dual_sub_f32 v42, v102, v42
	v_fma_f32 v47, v56, 2.0, -v29
	v_fma_f32 v48, v105, 2.0, -v30
	;; [unrolled: 1-line block ×4, first 2 shown]
	v_fmac_f32_e32 v43, 0xbec3ef15, v92
	v_fmac_f32_e32 v44, 0x3ec3ef15, v55
	ds_store_2addr_b64 v140, v[29:30], v[31:32] offset0:224 offset1:240
	v_fma_f32 v31, v107, 2.0, -v33
	v_fma_f32 v32, v54, 2.0, -v34
	;; [unrolled: 1-line block ×10, first 2 shown]
	ds_store_2addr_b64 v140, v[47:48], v[49:50] offset0:96 offset1:112
	ds_store_2addr_b64 v140, v[33:34], v[35:36] offset0:160 offset1:176
	v_fma_f32 v33, v103, 2.0, -v43
	v_fma_f32 v34, v110, 2.0, -v44
	ds_store_2addr_b64 v140, v[37:38], v[39:40] offset0:192 offset1:208
	ds_store_2addr_b64 v140, v[31:32], v[51:52] offset0:32 offset1:48
	;; [unrolled: 1-line block ×4, first 2 shown]
	ds_store_2addr_b64 v140, v[29:30], v[33:34] offset1:16
	global_wb scope:SCOPE_SE
	s_wait_dscnt 0x0
	s_barrier_signal -1
	s_barrier_wait -1
	global_inv scope:SCOPE_SE
	s_clause 0x7
	global_load_b128 v[41:44], v[96:97], off offset:1920
	global_load_b128 v[37:40], v[96:97], off offset:1936
	;; [unrolled: 1-line block ×7, first 2 shown]
	global_load_b64 v[92:93], v[96:97], off offset:2032
	ds_load_2addr_stride64_b64 v[94:97], v138 offset1:4
	ds_load_2addr_stride64_b64 v[98:101], v138 offset0:8 offset1:12
	ds_load_2addr_stride64_b64 v[102:105], v138 offset0:16 offset1:20
	;; [unrolled: 1-line block ×7, first 2 shown]
	s_wait_loadcnt_dscnt 0x706
	v_dual_mul_f32 v127, v96, v42 :: v_dual_mul_f32 v128, v99, v44
	s_wait_loadcnt_dscnt 0x505
	v_mul_f32_e32 v135, v104, v34
	s_wait_dscnt 0x4
	v_mul_f32_e32 v137, v106, v36
	s_wait_loadcnt_dscnt 0x302
	v_dual_mul_f32 v147, v115, v56 :: v_dual_mul_f32 v126, v97, v42
	s_wait_loadcnt_dscnt 0x100
	v_mul_f32_e32 v156, v122, v48
	v_mul_f32_e32 v134, v105, v34
	v_fmac_f32_e32 v127, v97, v41
	v_fma_f32 v97, v98, v43, -v128
	v_fmac_f32_e32 v135, v105, v33
	v_fmac_f32_e32 v137, v107, v35
	v_fma_f32 v105, v114, v55, -v147
	v_fmac_f32_e32 v156, v123, v47
	v_mul_f32_e32 v148, v114, v56
	v_mul_f32_e32 v154, v120, v46
	s_delay_alu instid0(VALU_DEP_4) | instskip(NEXT) | instid1(VALU_DEP_4)
	v_dual_mul_f32 v150, v116, v50 :: v_dual_sub_f32 v105, v97, v105
	v_sub_f32_e32 v114, v137, v156
	v_mul_f32_e32 v153, v121, v46
	s_delay_alu instid0(VALU_DEP_4)
	v_fmac_f32_e32 v154, v121, v45
	v_mul_f32_e32 v130, v101, v38
	v_mul_f32_e32 v145, v113, v54
	v_fma_f32 v121, v137, 2.0, -v114
	v_sub_f32_e32 v114, v105, v114
	v_dual_mul_f32 v131, v100, v38 :: v_dual_fmac_f32 v150, v117, v49
	v_dual_mul_f32 v136, v107, v36 :: v_dual_mul_f32 v149, v117, v50
	v_fma_f32 v96, v96, v41, -v126
	s_delay_alu instid0(VALU_DEP_3) | instskip(SKIP_1) | instid1(VALU_DEP_4)
	v_fmac_f32_e32 v131, v101, v37
	v_mul_f32_e32 v155, v123, v48
	v_fma_f32 v101, v106, v35, -v136
	v_fma_f32 v106, v116, v49, -v149
	v_sub_f32_e32 v116, v135, v154
	v_sub_f32_e32 v117, v131, v150
	v_mul_f32_e32 v129, v98, v44
	v_fma_f32 v98, v100, v37, -v130
	v_fma_f32 v100, v104, v33, -v134
	v_fma_f32 v104, v112, v53, -v145
	v_fma_f32 v123, v135, 2.0, -v116
	v_mul_f32_e32 v132, v103, v40
	v_mul_f32_e32 v142, v108, v30
	;; [unrolled: 1-line block ×3, first 2 shown]
	v_dual_sub_f32 v104, v96, v104 :: v_dual_mul_f32 v141, v109, v30
	s_wait_loadcnt 0x0
	v_mul_f32_e32 v158, v124, v93
	v_dual_mul_f32 v146, v112, v54 :: v_dual_fmac_f32 v129, v99, v43
	s_delay_alu instid0(VALU_DEP_3)
	v_sub_f32_e32 v116, v104, v116
	v_fma_f32 v96, v96, 2.0, -v104
	v_fma_f32 v99, v102, v39, -v132
	v_fmac_f32_e32 v142, v109, v29
	v_fmac_f32_e32 v144, v111, v31
	v_fma_f32 v104, v104, 2.0, -v116
	v_mul_f32_e32 v151, v119, v52
	v_fmac_f32_e32 v148, v115, v55
	v_fma_f32 v109, v122, v47, -v155
	v_fmac_f32_e32 v158, v125, v92
	v_mul_f32_e32 v152, v118, v52
	v_fma_f32 v107, v118, v51, -v151
	v_fmac_f32_e32 v146, v113, v53
	v_sub_f32_e32 v113, v129, v148
	v_dual_sub_f32 v109, v101, v109 :: v_dual_sub_f32 v106, v98, v106
	s_delay_alu instid0(VALU_DEP_4) | instskip(SKIP_2) | instid1(VALU_DEP_4)
	v_dual_sub_f32 v107, v99, v107 :: v_dual_sub_f32 v118, v142, v158
	v_mul_f32_e32 v143, v111, v32
	v_sub_f32_e32 v111, v95, v144
	v_fma_f32 v101, v101, 2.0, -v109
	s_delay_alu instid0(VALU_DEP_4)
	v_fma_f32 v99, v99, 2.0, -v107
	v_add_f32_e32 v109, v113, v109
	v_mul_f32_e32 v157, v125, v93
	v_add_f32_e32 v107, v111, v107
	v_fma_f32 v95, v95, 2.0, -v111
	v_fma_f32 v97, v97, 2.0, -v105
	;; [unrolled: 1-line block ×3, first 2 shown]
	v_mul_f32_e32 v133, v102, v40
	v_fma_f32 v102, v108, v29, -v141
	v_fma_f32 v108, v120, v45, -v153
	v_fma_f32 v120, v129, 2.0, -v113
	v_fma_f32 v111, v111, 2.0, -v107
	;; [unrolled: 1-line block ×4, first 2 shown]
	v_sub_f32_e32 v118, v106, v118
	v_fmac_f32_e32 v152, v119, v51
	s_delay_alu instid0(VALU_DEP_4)
	v_dual_sub_f32 v115, v127, v146 :: v_dual_fmamk_f32 v132, v113, 0xbf3504f3, v111
	v_fmac_f32_e32 v133, v103, v39
	v_fma_f32 v103, v110, v31, -v143
	v_fma_f32 v110, v124, v92, -v157
	v_fma_f32 v124, v131, 2.0, -v117
	v_fmac_f32_e32 v132, 0x3f3504f3, v105
	v_sub_f32_e32 v112, v133, v152
	v_sub_f32_e32 v108, v100, v108
	v_dual_sub_f32 v110, v102, v110 :: v_dual_sub_f32 v101, v97, v101
	v_fmamk_f32 v128, v118, 0x3f3504f3, v116
	s_delay_alu instid0(VALU_DEP_4) | instskip(NEXT) | instid1(VALU_DEP_4)
	v_fma_f32 v119, v133, 2.0, -v112
	v_fma_f32 v100, v100, 2.0, -v108
	s_delay_alu instid0(VALU_DEP_4)
	v_fma_f32 v102, v102, 2.0, -v110
	v_add_f32_e32 v110, v117, v110
	v_add_f32_e32 v108, v115, v108
	v_fma_f32 v98, v98, 2.0, -v106
	v_sub_f32_e32 v119, v95, v119
	v_sub_f32_e32 v121, v120, v121
	v_fma_f32 v117, v117, 2.0, -v110
	v_dual_sub_f32 v103, v94, v103 :: v_dual_sub_f32 v100, v96, v100
	v_sub_f32_e32 v125, v124, v125
	v_fma_f32 v106, v106, 2.0, -v118
	v_fmamk_f32 v129, v110, 0x3f3504f3, v108
	s_delay_alu instid0(VALU_DEP_4)
	v_fma_f32 v94, v94, 2.0, -v103
	v_sub_f32_e32 v112, v103, v112
	v_fmac_f32_e32 v128, 0xbf3504f3, v110
	v_sub_f32_e32 v102, v98, v102
	v_fma_f32 v131, v95, 2.0, -v119
	v_sub_f32_e32 v99, v94, v99
	v_fmamk_f32 v126, v114, 0x3f3504f3, v112
	v_fma_f32 v95, v120, 2.0, -v121
	v_fma_f32 v120, v96, 2.0, -v100
	;; [unrolled: 1-line block ×5, first 2 shown]
	v_sub_f32_e32 v121, v99, v121
	v_fmac_f32_e32 v126, 0xbf3504f3, v109
	v_fma_f32 v97, v124, 2.0, -v125
	v_fmac_f32_e32 v129, 0x3f3504f3, v118
	v_sub_f32_e32 v110, v130, v94
	v_fma_f32 v122, v127, 2.0, -v115
	v_fmamk_f32 v127, v109, 0x3f3504f3, v107
	v_sub_f32_e32 v109, v100, v125
	v_fma_f32 v136, v112, 2.0, -v126
	v_fma_f32 v116, v116, 2.0, -v128
	v_sub_f32_e32 v123, v122, v123
	v_fmac_f32_e32 v127, 0x3f3504f3, v114
	v_fmamk_f32 v114, v106, 0xbf3504f3, v104
	v_fmamk_f32 v94, v109, 0x3f3504f3, v121
	v_sub_f32_e32 v118, v131, v95
	v_add_f32_e32 v125, v123, v102
	v_fma_f32 v122, v122, 2.0, -v123
	v_fmac_f32_e32 v114, 0xbf3504f3, v117
	v_fma_f32 v103, v103, 2.0, -v112
	v_fma_f32 v112, v100, 2.0, -v109
	v_fmac_f32_e32 v94, 0xbf3504f3, v125
	v_fma_f32 v115, v115, 2.0, -v108
	v_fmamk_f32 v100, v116, 0xbec3ef15, v136
	v_dual_fmamk_f32 v124, v105, 0xbf3504f3, v103 :: v_dual_sub_f32 v105, v120, v96
	v_sub_f32_e32 v102, v122, v97
	s_delay_alu instid0(VALU_DEP_4) | instskip(SKIP_1) | instid1(VALU_DEP_4)
	v_fmamk_f32 v134, v117, 0xbf3504f3, v115
	v_fma_f32 v117, v108, 2.0, -v129
	v_fmac_f32_e32 v124, 0xbf3504f3, v113
	v_fma_f32 v113, v123, 2.0, -v125
	v_fma_f32 v123, v130, 2.0, -v110
	v_fmac_f32_e32 v134, 0x3f3504f3, v106
	v_fma_f32 v106, v120, 2.0, -v105
	v_fma_f32 v120, v104, 2.0, -v114
	v_fmamk_f32 v104, v114, 0x3ec3ef15, v124
	v_fma_f32 v130, v131, 2.0, -v118
	v_fma_f32 v131, v103, 2.0, -v124
	v_fmac_f32_e32 v100, 0xbf6c835e, v117
	v_fma_f32 v135, v99, 2.0, -v121
	v_dual_fmac_f32 v104, 0xbf6c835e, v134 :: v_dual_add_f32 v133, v119, v101
	s_delay_alu instid0(VALU_DEP_4) | instskip(SKIP_2) | instid1(VALU_DEP_4)
	v_fmamk_f32 v108, v120, 0xbf6c835e, v131
	v_fma_f32 v137, v107, 2.0, -v127
	v_dual_fmamk_f32 v96, v128, 0x3f6c835e, v126 :: v_dual_fmamk_f32 v97, v129, 0x3f6c835e, v127
	v_fma_f32 v119, v119, 2.0, -v133
	v_fmamk_f32 v95, v125, 0x3f3504f3, v133
	v_fma_f32 v141, v111, 2.0, -v132
	v_fma_f32 v107, v122, 2.0, -v102
	;; [unrolled: 1-line block ×3, first 2 shown]
	v_fmamk_f32 v98, v112, 0xbf3504f3, v135
	v_fmamk_f32 v99, v113, 0xbf3504f3, v119
	v_fmamk_f32 v101, v117, 0xbec3ef15, v137
	v_add_f32_e32 v103, v118, v105
	v_fmamk_f32 v105, v134, 0x3ec3ef15, v132
	v_fmac_f32_e32 v95, 0x3f3504f3, v109
	v_fmac_f32_e32 v96, 0xbec3ef15, v129
	v_fmac_f32_e32 v97, 0x3ec3ef15, v128
	v_fmamk_f32 v109, v122, 0xbf6c835e, v141
	v_fmac_f32_e32 v98, 0xbf3504f3, v113
	v_fmac_f32_e32 v99, 0x3f3504f3, v112
	v_dual_fmac_f32 v101, 0x3f6c835e, v116 :: v_dual_sub_f32 v102, v110, v102
	v_fmac_f32_e32 v105, 0x3f6c835e, v114
	v_dual_sub_f32 v106, v123, v106 :: v_dual_sub_f32 v107, v130, v107
	v_fma_f32 v112, v121, 2.0, -v94
	v_fma_f32 v113, v133, 2.0, -v95
	;; [unrolled: 1-line block ×4, first 2 shown]
	v_fmac_f32_e32 v108, 0xbec3ef15, v122
	v_fmac_f32_e32 v109, 0x3ec3ef15, v120
	ds_store_2addr_stride64_b64 v138, v[94:95], v[96:97] offset0:56 offset1:60
	v_fma_f32 v96, v135, 2.0, -v98
	v_fma_f32 v97, v119, 2.0, -v99
	;; [unrolled: 1-line block ×10, first 2 shown]
	ds_store_2addr_stride64_b64 v138, v[112:113], v[114:115] offset0:24 offset1:28
	ds_store_2addr_stride64_b64 v138, v[98:99], v[100:101] offset0:40 offset1:44
	v_fma_f32 v98, v131, 2.0, -v108
	v_fma_f32 v99, v141, 2.0, -v109
	ds_store_2addr_stride64_b64 v138, v[102:103], v[104:105] offset0:48 offset1:52
	ds_store_2addr_stride64_b64 v138, v[96:97], v[116:117] offset0:8 offset1:12
	;; [unrolled: 1-line block ×4, first 2 shown]
	ds_store_2addr_stride64_b64 v138, v[94:95], v[98:99] offset1:4
	global_wb scope:SCOPE_SE
	s_wait_dscnt 0x0
	s_barrier_signal -1
	s_barrier_wait -1
	global_inv scope:SCOPE_SE
	s_clause 0xf
	global_load_b64 v[94:95], v138, s[8:9] offset:32768
	global_load_b64 v[96:97], v138, s[2:3] offset:2048
	;; [unrolled: 1-line block ×16, first 2 shown]
	v_mad_co_u64_u32 v[120:121], null, s6, v89, 0
	v_mad_co_u64_u32 v[126:127], null, s4, v0, 0
	ds_load_2addr_stride64_b64 v[141:144], v138 offset1:4
	ds_load_2addr_stride64_b64 v[145:148], v138 offset0:8 offset1:12
	ds_load_2addr_stride64_b64 v[149:152], v138 offset0:16 offset1:20
	;; [unrolled: 1-line block ×7, first 2 shown]
	s_wait_loadcnt_dscnt 0xf07
	v_mul_f32_e32 v174, v141, v95
	s_wait_loadcnt_dscnt 0xc06
	v_dual_mul_f32 v175, v146, v99 :: v_dual_mul_f32 v176, v148, v101
	s_delay_alu instid0(VALU_DEP_2) | instskip(SKIP_4) | instid1(VALU_DEP_2)
	v_fmac_f32_e32 v174, v142, v94
	s_wait_loadcnt 0x2
	v_mad_co_u64_u32 v[130:131], null, s7, v89, v[121:122]
	s_wait_loadcnt 0x0
	v_mad_co_u64_u32 v[131:132], null, s5, v0, v[127:128]
	v_mov_b32_e32 v121, v130
	s_delay_alu instid0(VALU_DEP_2) | instskip(NEXT) | instid1(VALU_DEP_2)
	v_mov_b32_e32 v127, v131
	v_lshlrev_b64_e32 v[120:121], 3, v[120:121]
	s_delay_alu instid0(VALU_DEP_2) | instskip(NEXT) | instid1(VALU_DEP_2)
	v_lshlrev_b64_e32 v[126:127], 3, v[126:127]
	v_add_co_u32 v0, vcc_lo, s0, v120
	s_wait_alu 0xfffd
	s_delay_alu instid0(VALU_DEP_3) | instskip(SKIP_1) | instid1(VALU_DEP_2)
	v_add_co_ci_u32_e32 v89, vcc_lo, s1, v121, vcc_lo
	s_lshl_b64 s[0:1], s[4:5], 11
	v_add_co_u32 v120, vcc_lo, v0, v126
	s_wait_alu 0xfffd
	s_delay_alu instid0(VALU_DEP_2) | instskip(SKIP_4) | instid1(VALU_DEP_4)
	v_add_co_ci_u32_e32 v121, vcc_lo, v89, v127, vcc_lo
	v_dual_mul_f32 v0, v142, v95 :: v_dual_mul_f32 v89, v144, v97
	v_mul_f32_e32 v95, v143, v97
	v_mul_f32_e32 v97, v145, v99
	;; [unrolled: 1-line block ×3, first 2 shown]
	v_fma_f32 v173, v141, v94, -v0
	s_wait_dscnt 0x5
	v_mul_f32_e32 v0, v150, v103
	v_fma_f32 v94, v143, v96, -v89
	v_mul_f32_e32 v101, v149, v103
	v_mul_f32_e32 v89, v152, v105
	v_mul_f32_e32 v103, v151, v105
	s_wait_dscnt 0x4
	v_mul_f32_e32 v141, v154, v107
	v_dual_mul_f32 v105, v153, v107 :: v_dual_mul_f32 v142, v156, v109
	v_mul_f32_e32 v107, v155, v109
	v_fmac_f32_e32 v95, v144, v96
	v_fma_f32 v96, v145, v98, -v175
	v_fmac_f32_e32 v97, v146, v98
	v_fma_f32 v98, v147, v100, -v176
	v_fmac_f32_e32 v99, v148, v100
	s_wait_dscnt 0x3
	v_mul_f32_e32 v143, v158, v111
	v_dual_mul_f32 v109, v157, v111 :: v_dual_mul_f32 v144, v160, v113
	v_mul_f32_e32 v111, v159, v113
	v_fma_f32 v100, v149, v102, -v0
	s_wait_dscnt 0x2
	v_mul_f32_e32 v0, v162, v115
	v_fmac_f32_e32 v101, v150, v102
	v_mul_f32_e32 v113, v161, v115
	v_fma_f32 v102, v151, v104, -v89
	v_mul_f32_e32 v89, v164, v117
	v_fmac_f32_e32 v103, v152, v104
	v_mul_f32_e32 v115, v163, v117
	s_wait_dscnt 0x1
	v_mul_f32_e32 v145, v166, v119
	v_mul_f32_e32 v117, v165, v119
	;; [unrolled: 1-line block ×3, first 2 shown]
	v_fma_f32 v104, v153, v106, -v141
	v_fmac_f32_e32 v105, v154, v106
	v_mul_f32_e32 v119, v167, v123
	s_wait_dscnt 0x0
	v_mul_f32_e32 v141, v170, v125
	v_fma_f32 v106, v155, v108, -v142
	v_mul_f32_e32 v123, v169, v125
	v_mul_f32_e32 v142, v172, v129
	;; [unrolled: 1-line block ×3, first 2 shown]
	v_fmac_f32_e32 v107, v156, v108
	v_fma_f32 v108, v157, v110, -v143
	v_fmac_f32_e32 v109, v158, v110
	v_fma_f32 v110, v159, v112, -v144
	;; [unrolled: 2-line block ×8, first 2 shown]
	v_fmac_f32_e32 v125, v172, v128
	ds_store_2addr_stride64_b64 v138, v[173:174], v[94:95] offset1:4
	ds_store_2addr_stride64_b64 v138, v[96:97], v[98:99] offset0:8 offset1:12
	ds_store_2addr_stride64_b64 v138, v[100:101], v[102:103] offset0:16 offset1:20
	;; [unrolled: 1-line block ×7, first 2 shown]
	global_wb scope:SCOPE_SE
	s_wait_dscnt 0x0
	s_barrier_signal -1
	s_barrier_wait -1
	global_inv scope:SCOPE_SE
	ds_load_2addr_stride64_b64 v[98:101], v138 offset1:4
	ds_load_2addr_stride64_b64 v[102:105], v138 offset0:32 offset1:36
	ds_load_2addr_stride64_b64 v[106:109], v138 offset0:16 offset1:20
	;; [unrolled: 1-line block ×7, first 2 shown]
	global_wb scope:SCOPE_SE
	s_wait_dscnt 0x0
	s_barrier_signal -1
	s_barrier_wait -1
	global_inv scope:SCOPE_SE
	s_wait_alu 0xfffe
	v_add_co_u32 v126, vcc_lo, v120, s0
	s_wait_alu 0xfffd
	v_add_co_ci_u32_e32 v127, vcc_lo, s1, v121, vcc_lo
	s_delay_alu instid0(VALU_DEP_2) | instskip(SKIP_1) | instid1(VALU_DEP_2)
	v_add_co_u32 v130, vcc_lo, v126, s0
	s_wait_alu 0xfffd
	v_add_co_ci_u32_e32 v131, vcc_lo, s1, v127, vcc_lo
	v_dual_sub_f32 v0, v98, v102 :: v_dual_sub_f32 v89, v99, v103
	v_dual_sub_f32 v102, v106, v110 :: v_dual_sub_f32 v103, v107, v111
	;; [unrolled: 1-line block ×8, first 2 shown]
	v_fma_f32 v98, v98, 2.0, -v0
	v_fma_f32 v99, v99, 2.0, -v89
	;; [unrolled: 1-line block ×16, first 2 shown]
	v_dual_add_f32 v103, v0, v103 :: v_dual_sub_f32 v102, v89, v102
	v_dual_add_f32 v119, v110, v119 :: v_dual_sub_f32 v118, v111, v118
	;; [unrolled: 1-line block ×4, first 2 shown]
	v_dual_sub_f32 v106, v98, v106 :: v_dual_sub_f32 v107, v99, v107
	v_fma_f32 v0, v0, 2.0, -v103
	v_fma_f32 v89, v89, 2.0, -v102
	v_dual_sub_f32 v128, v114, v128 :: v_dual_sub_f32 v129, v115, v129
	v_fma_f32 v110, v110, 2.0, -v119
	v_fma_f32 v111, v111, 2.0, -v118
	;; [unrolled: 3-line block ×4, first 2 shown]
	v_dual_fmamk_f32 v143, v119, 0x3f3504f3, v103 :: v_dual_fmamk_f32 v144, v118, 0x3f3504f3, v102
	v_dual_fmamk_f32 v145, v125, 0x3f3504f3, v113 :: v_dual_fmamk_f32 v146, v124, 0x3f3504f3, v112
	v_fma_f32 v147, v98, 2.0, -v106
	v_fma_f32 v148, v99, 2.0, -v107
	v_fma_f32 v98, v114, 2.0, -v128
	v_fma_f32 v99, v115, 2.0, -v129
	v_fma_f32 v114, v100, 2.0, -v108
	v_fma_f32 v115, v101, 2.0, -v109
	v_fma_f32 v100, v116, 2.0, -v141
	v_fma_f32 v101, v117, 2.0, -v142
	v_dual_fmamk_f32 v116, v110, 0xbf3504f3, v0 :: v_dual_fmamk_f32 v117, v111, 0xbf3504f3, v89
	v_fmac_f32_e32 v143, 0x3f3504f3, v118
	v_fmac_f32_e32 v144, 0xbf3504f3, v119
	v_dual_fmamk_f32 v118, v122, 0xbf3504f3, v104 :: v_dual_fmamk_f32 v119, v123, 0xbf3504f3, v105
	v_dual_add_f32 v129, v106, v129 :: v_dual_sub_f32 v128, v107, v128
	v_dual_add_f32 v142, v108, v142 :: v_dual_sub_f32 v141, v109, v141
	v_fmac_f32_e32 v145, 0x3f3504f3, v124
	v_fmac_f32_e32 v146, 0xbf3504f3, v125
	;; [unrolled: 1-line block ×6, first 2 shown]
	v_fma_f32 v149, v106, 2.0, -v129
	v_fma_f32 v150, v107, 2.0, -v128
	;; [unrolled: 1-line block ×8, first 2 shown]
	v_dual_sub_f32 v124, v147, v98 :: v_dual_sub_f32 v125, v148, v99
	v_dual_sub_f32 v107, v114, v100 :: v_dual_sub_f32 v106, v115, v101
	v_fma_f32 v0, v0, 2.0, -v116
	v_fma_f32 v89, v89, 2.0, -v117
	;; [unrolled: 1-line block ×4, first 2 shown]
	v_dual_fmamk_f32 v98, v142, 0x3f3504f3, v129 :: v_dual_fmamk_f32 v99, v141, 0x3f3504f3, v128
	v_dual_fmamk_f32 v100, v145, 0x3f6c835e, v143 :: v_dual_fmamk_f32 v101, v146, 0x3f6c835e, v144
	;; [unrolled: 1-line block ×5, first 2 shown]
	v_fma_f32 v147, v147, 2.0, -v124
	v_fma_f32 v148, v148, 2.0, -v125
	;; [unrolled: 1-line block ×4, first 2 shown]
	v_dual_fmamk_f32 v112, v155, 0xbf6c835e, v0 :: v_dual_fmamk_f32 v113, v156, 0xbf6c835e, v89
	v_dual_add_f32 v106, v124, v106 :: v_dual_sub_f32 v107, v125, v107
	v_fmac_f32_e32 v98, 0x3f3504f3, v141
	v_fmac_f32_e32 v99, 0xbf3504f3, v142
	;; [unrolled: 1-line block ×9, first 2 shown]
	v_dual_fmac_f32 v105, 0xbf6c835e, v153 :: v_dual_sub_f32 v110, v147, v110
	v_dual_sub_f32 v111, v148, v111 :: v_dual_fmac_f32 v112, 0x3ec3ef15, v156
	v_fmac_f32_e32 v113, 0xbec3ef15, v155
	v_fma_f32 v114, v124, 2.0, -v106
	v_fma_f32 v115, v125, 2.0, -v107
	;; [unrolled: 1-line block ×12, first 2 shown]
	ds_store_b128 v139, v[98:101] offset:112
	v_fma_f32 v98, v147, 2.0, -v110
	v_fma_f32 v99, v148, 2.0, -v111
	;; [unrolled: 1-line block ×4, first 2 shown]
	ds_store_b128 v139, v[106:109] offset:96
	ds_store_b128 v139, v[122:125] offset:48
	;; [unrolled: 1-line block ×6, first 2 shown]
	ds_store_b128 v139, v[98:101]
	global_wb scope:SCOPE_SE
	s_wait_dscnt 0x0
	s_barrier_signal -1
	s_barrier_wait -1
	global_inv scope:SCOPE_SE
	ds_load_2addr_stride64_b64 v[102:105], v138 offset1:4
	ds_load_2addr_stride64_b64 v[106:109], v138 offset0:8 offset1:12
	ds_load_2addr_stride64_b64 v[110:113], v138 offset0:16 offset1:20
	ds_load_2addr_stride64_b64 v[114:117], v138 offset0:24 offset1:28
	ds_load_2addr_stride64_b64 v[122:125], v138 offset0:32 offset1:36
	ds_load_2addr_stride64_b64 v[141:144], v138 offset0:40 offset1:44
	ds_load_2addr_stride64_b64 v[145:148], v138 offset0:48 offset1:52
	ds_load_2addr_stride64_b64 v[149:152], v138 offset0:56 offset1:60
	global_wb scope:SCOPE_SE
	s_wait_dscnt 0x0
	s_barrier_signal -1
	s_barrier_wait -1
	global_inv scope:SCOPE_SE
	v_add_co_u32 v132, vcc_lo, v130, s0
	s_wait_alu 0xfffd
	v_add_co_ci_u32_e32 v133, vcc_lo, s1, v131, vcc_lo
	s_delay_alu instid0(VALU_DEP_2) | instskip(SKIP_1) | instid1(VALU_DEP_2)
	v_add_co_u32 v134, vcc_lo, v132, s0
	s_wait_alu 0xfffd
	v_add_co_ci_u32_e32 v135, vcc_lo, s1, v133, vcc_lo
	s_delay_alu instid0(VALU_DEP_2)
	v_add_co_u32 v136, vcc_lo, v134, s0
	v_mul_f32_e32 v0, v14, v105
	v_dual_mul_f32 v14, v14, v104 :: v_dual_mul_f32 v89, v16, v107
	v_mul_f32_e32 v16, v16, v106
	v_mul_f32_e32 v118, v10, v109
	;; [unrolled: 1-line block ×6, first 2 shown]
	v_dual_mul_f32 v91, v91, v151 :: v_dual_mul_f32 v128, v6, v113
	v_dual_mul_f32 v6, v6, v112 :: v_dual_mul_f32 v129, v8, v115
	v_mul_f32_e32 v8, v8, v114
	v_mul_f32_e32 v22, v22, v143
	v_fmac_f32_e32 v0, v13, v104
	v_fma_f32 v13, v13, v105, -v14
	v_fmac_f32_e32 v89, v15, v106
	v_fma_f32 v14, v15, v107, -v16
	v_fmac_f32_e32 v118, v9, v108
	v_fmac_f32_e32 v139, v1, v116
	v_fma_f32 v1, v1, v117, -v2
	v_fmac_f32_e32 v156, v21, v143
	v_fma_f32 v15, v90, v152, -v91
	;; [unrolled: 2-line block ×4, first 2 shown]
	v_fma_f32 v7, v21, v144, -v22
	v_dual_sub_f32 v22, v118, v156 :: v_dual_sub_f32 v15, v1, v15
	v_mul_f32_e32 v10, v10, v108
	v_mul_f32_e32 v154, v26, v125
	;; [unrolled: 1-line block ×4, first 2 shown]
	v_fma_f32 v1, v1, 2.0, -v15
	v_add_f32_e32 v15, v22, v15
	v_fmac_f32_e32 v160, v90, v151
	v_fma_f32 v90, v118, 2.0, -v22
	v_mul_f32_e32 v159, v20, v150
	v_mul_f32_e32 v20, v20, v149
	v_fma_f32 v22, v22, 2.0, -v15
	v_mul_f32_e32 v119, v12, v111
	v_mul_f32_e32 v12, v12, v110
	v_fma_f32 v9, v9, v109, -v10
	v_dual_fmac_f32 v154, v25, v124 :: v_dual_mul_f32 v157, v24, v146
	s_delay_alu instid0(VALU_DEP_4) | instskip(NEXT) | instid1(VALU_DEP_4)
	v_fmac_f32_e32 v119, v11, v110
	v_fma_f32 v10, v11, v111, -v12
	v_fma_f32 v11, v17, v148, -v18
	v_mul_f32_e32 v24, v24, v145
	v_fma_f32 v12, v19, v150, -v20
	v_sub_f32_e32 v20, v0, v154
	v_mul_f32_e32 v153, v4, v123
	v_dual_sub_f32 v11, v5, v11 :: v_dual_mul_f32 v4, v4, v122
	v_dual_mul_f32 v26, v26, v124 :: v_dual_mul_f32 v155, v28, v142
	v_mul_f32_e32 v28, v28, v141
	v_fmac_f32_e32 v157, v23, v145
	v_fma_f32 v8, v23, v146, -v24
	v_sub_f32_e32 v7, v9, v7
	v_sub_f32_e32 v23, v139, v160
	v_fma_f32 v5, v5, 2.0, -v11
	v_add_f32_e32 v11, v20, v11
	v_fmac_f32_e32 v153, v3, v122
	v_fma_f32 v2, v3, v123, -v4
	v_fma_f32 v3, v25, v125, -v26
	v_fmac_f32_e32 v155, v27, v141
	v_fma_f32 v4, v27, v142, -v28
	v_dual_fmac_f32 v158, v17, v147 :: v_dual_fmac_f32 v159, v19, v149
	v_fma_f32 v91, v139, 2.0, -v23
	v_sub_f32_e32 v23, v7, v23
	v_fmamk_f32 v104, v15, 0x3f3504f3, v11
	v_sub_f32_e32 v16, v102, v153
	v_sub_f32_e32 v2, v103, v2
	;; [unrolled: 1-line block ×4, first 2 shown]
	v_dual_sub_f32 v4, v14, v4 :: v_dual_sub_f32 v19, v129, v159
	v_dual_sub_f32 v12, v6, v12 :: v_dual_sub_f32 v3, v13, v3
	v_dual_sub_f32 v21, v128, v158 :: v_dual_fmac_f32 v104, 0x3f3504f3, v23
	v_sub_f32_e32 v17, v119, v157
	v_fma_f32 v24, v102, 2.0, -v16
	v_fma_f32 v25, v103, 2.0, -v2
	;; [unrolled: 1-line block ×9, first 2 shown]
	v_dual_add_f32 v8, v16, v8 :: v_dual_sub_f32 v17, v2, v17
	v_dual_add_f32 v12, v18, v12 :: v_dual_sub_f32 v19, v4, v19
	v_sub_f32_e32 v21, v3, v21
	v_fma_f32 v14, v14, 2.0, -v4
	v_fma_f32 v13, v13, 2.0, -v3
	;; [unrolled: 1-line block ×3, first 2 shown]
	v_sub_f32_e32 v26, v24, v26
	v_sub_f32_e32 v10, v25, v10
	v_fma_f32 v16, v16, 2.0, -v8
	v_fma_f32 v102, v2, 2.0, -v17
	v_sub_f32_e32 v2, v27, v28
	v_fma_f32 v18, v18, 2.0, -v12
	v_fma_f32 v4, v4, 2.0, -v19
	;; [unrolled: 3-line block ×3, first 2 shown]
	v_sub_f32_e32 v3, v90, v91
	v_fma_f32 v7, v7, 2.0, -v23
	v_dual_fmamk_f32 v91, v12, 0x3f3504f3, v8 :: v_dual_sub_f32 v6, v14, v6
	v_sub_f32_e32 v5, v13, v5
	v_sub_f32_e32 v1, v9, v1
	v_fmamk_f32 v103, v19, 0x3f3504f3, v17
	v_fmamk_f32 v105, v23, 0x3f3504f3, v21
	v_fma_f32 v24, v24, 2.0, -v26
	v_fma_f32 v27, v27, 2.0, -v2
	;; [unrolled: 1-line block ×4, first 2 shown]
	v_fmamk_f32 v90, v18, 0xbf3504f3, v16
	v_fmamk_f32 v107, v4, 0xbf3504f3, v102
	v_sub_f32_e32 v109, v10, v2
	v_fmac_f32_e32 v91, 0x3f3504f3, v19
	v_dual_fmamk_f32 v19, v22, 0xbf3504f3, v20 :: v_dual_fmamk_f32 v110, v7, 0xbf3504f3, v89
	v_dual_add_f32 v108, v26, v6 :: v_dual_fmac_f32 v103, 0xbf3504f3, v12
	v_dual_add_f32 v12, v28, v1 :: v_dual_sub_f32 v111, v5, v3
	v_fmac_f32_e32 v105, 0xbf3504f3, v15
	v_fma_f32 v25, v25, 2.0, -v10
	v_fma_f32 v14, v14, 2.0, -v6
	;; [unrolled: 1-line block ×4, first 2 shown]
	v_dual_sub_f32 v23, v24, v27 :: v_dual_fmac_f32 v90, 0x3f3504f3, v4
	v_fmac_f32_e32 v107, 0xbf3504f3, v18
	v_fma_f32 v112, v10, 2.0, -v109
	v_dual_sub_f32 v10, v106, v0 :: v_dual_fmac_f32 v19, 0x3f3504f3, v7
	v_fmac_f32_e32 v110, 0xbf3504f3, v22
	v_fma_f32 v26, v26, 2.0, -v108
	v_fma_f32 v113, v8, 2.0, -v91
	;; [unrolled: 1-line block ×7, first 2 shown]
	v_sub_f32_e32 v27, v25, v14
	v_sub_f32_e32 v8, v13, v9
	v_dual_fmamk_f32 v0, v12, 0x3f3504f3, v108 :: v_dual_fmamk_f32 v1, v111, 0x3f3504f3, v109
	v_fmamk_f32 v2, v104, 0x3f6c835e, v91
	v_fmamk_f32 v3, v105, 0x3f6c835e, v103
	v_fma_f32 v24, v24, 2.0, -v23
	v_fma_f32 v28, v16, 2.0, -v90
	;; [unrolled: 1-line block ×6, first 2 shown]
	v_fmamk_f32 v4, v17, 0xbf3504f3, v26
	v_fmamk_f32 v5, v18, 0xbf3504f3, v112
	v_dual_fmamk_f32 v6, v22, 0xbec3ef15, v113 :: v_dual_fmamk_f32 v7, v21, 0xbec3ef15, v114
	v_fma_f32 v25, v25, 2.0, -v27
	v_fma_f32 v13, v13, 2.0, -v8
	v_sub_f32_e32 v9, v27, v10
	v_dual_fmamk_f32 v10, v19, 0x3ec3ef15, v90 :: v_dual_fmamk_f32 v11, v110, 0x3ec3ef15, v107
	v_fmac_f32_e32 v0, 0x3f3504f3, v111
	v_fmac_f32_e32 v1, 0xbf3504f3, v12
	;; [unrolled: 1-line block ×3, first 2 shown]
	v_dual_fmac_f32 v3, 0xbec3ef15, v104 :: v_dual_sub_f32 v12, v24, v14
	v_fmamk_f32 v14, v106, 0xbf6c835e, v28
	v_dual_fmamk_f32 v15, v89, 0xbf6c835e, v102 :: v_dual_add_f32 v8, v23, v8
	v_fmac_f32_e32 v4, 0x3f3504f3, v18
	v_fmac_f32_e32 v5, 0xbf3504f3, v17
	;; [unrolled: 1-line block ×4, first 2 shown]
	v_dual_sub_f32 v13, v25, v13 :: v_dual_fmac_f32 v10, 0x3f6c835e, v110
	v_fmac_f32_e32 v11, 0xbf6c835e, v19
	v_fma_f32 v18, v108, 2.0, -v0
	v_fma_f32 v19, v109, 2.0, -v1
	v_fma_f32 v20, v91, 2.0, -v2
	v_fma_f32 v21, v103, 2.0, -v3
	v_fmac_f32_e32 v14, 0x3ec3ef15, v89
	v_fmac_f32_e32 v15, 0xbec3ef15, v106
	v_fma_f32 v16, v23, 2.0, -v8
	ds_store_2addr_b64 v140, v[0:1], v[2:3] offset0:224 offset1:240
	v_fma_f32 v2, v26, 2.0, -v4
	v_fma_f32 v3, v112, 2.0, -v5
	;; [unrolled: 1-line block ×9, first 2 shown]
	ds_store_2addr_b64 v140, v[18:19], v[20:21] offset0:96 offset1:112
	ds_store_2addr_b64 v140, v[4:5], v[6:7] offset0:160 offset1:176
	v_fma_f32 v4, v28, 2.0, -v14
	v_fma_f32 v5, v102, 2.0, -v15
	ds_store_2addr_b64 v140, v[8:9], v[10:11] offset0:192 offset1:208
	ds_store_2addr_b64 v140, v[2:3], v[22:23] offset0:32 offset1:48
	;; [unrolled: 1-line block ×4, first 2 shown]
	ds_store_2addr_b64 v140, v[0:1], v[4:5] offset1:16
	global_wb scope:SCOPE_SE
	s_wait_dscnt 0x0
	s_barrier_signal -1
	s_barrier_wait -1
	global_inv scope:SCOPE_SE
	ds_load_2addr_stride64_b64 v[0:3], v138 offset1:4
	ds_load_2addr_stride64_b64 v[4:7], v138 offset0:8 offset1:12
	ds_load_2addr_stride64_b64 v[8:11], v138 offset0:16 offset1:20
	;; [unrolled: 1-line block ×7, first 2 shown]
	s_wait_alu 0xfffd
	v_add_co_ci_u32_e32 v137, vcc_lo, s1, v135, vcc_lo
	v_add_co_u32 v94, vcc_lo, v136, s0
	s_wait_alu 0xfffd
	s_delay_alu instid0(VALU_DEP_2) | instskip(NEXT) | instid1(VALU_DEP_2)
	v_add_co_ci_u32_e32 v95, vcc_lo, s1, v137, vcc_lo
	v_add_co_u32 v96, vcc_lo, v94, s0
	s_wait_alu 0xfffd
	s_delay_alu instid0(VALU_DEP_2) | instskip(NEXT) | instid1(VALU_DEP_2)
	v_add_co_ci_u32_e32 v97, vcc_lo, s1, v95, vcc_lo
	v_add_co_u32 v98, vcc_lo, v96, s0
	s_wait_dscnt 0x7
	v_mul_f32_e32 v28, v42, v3
	s_wait_dscnt 0x6
	v_dual_mul_f32 v42, v42, v2 :: v_dual_mul_f32 v91, v44, v5
	v_mul_f32_e32 v44, v44, v4
	v_mul_f32_e32 v110, v38, v7
	s_wait_dscnt 0x5
	v_mul_f32_e32 v112, v34, v11
	s_wait_dscnt 0x4
	v_dual_mul_f32 v34, v34, v10 :: v_dual_mul_f32 v113, v36, v13
	v_mul_f32_e32 v114, v30, v15
	s_wait_dscnt 0x2
	v_dual_mul_f32 v116, v54, v19 :: v_dual_mul_f32 v117, v56, v21
	v_mul_f32_e32 v56, v56, v20
	s_wait_dscnt 0x1
	v_mul_f32_e32 v122, v46, v27
	s_wait_dscnt 0x0
	v_dual_mul_f32 v46, v46, v26 :: v_dual_mul_f32 v123, v48, v103
	v_mul_f32_e32 v38, v38, v6
	v_mul_f32_e32 v30, v30, v14
	v_fmac_f32_e32 v28, v41, v2
	v_fma_f32 v2, v41, v3, -v42
	v_fma_f32 v3, v43, v5, -v44
	v_fmac_f32_e32 v110, v37, v6
	v_fma_f32 v6, v33, v11, -v34
	v_dual_fmac_f32 v113, v35, v12 :: v_dual_fmac_f32 v114, v29, v14
	v_fmac_f32_e32 v116, v53, v18
	v_fma_f32 v11, v55, v21, -v56
	v_fma_f32 v14, v45, v27, -v46
	v_fmac_f32_e32 v123, v47, v102
	v_fmac_f32_e32 v117, v55, v20
	v_sub_f32_e32 v21, v28, v116
	s_delay_alu instid0(VALU_DEP_4) | instskip(NEXT) | instid1(VALU_DEP_4)
	v_dual_sub_f32 v11, v3, v11 :: v_dual_sub_f32 v14, v6, v14
	v_dual_sub_f32 v20, v113, v123 :: v_dual_mul_f32 v111, v40, v9
	v_mul_f32_e32 v118, v50, v23
	v_mul_f32_e32 v124, v93, v105
	s_delay_alu instid0(VALU_DEP_4) | instskip(NEXT) | instid1(VALU_DEP_4)
	v_fma_f32 v6, v6, 2.0, -v14
	v_fma_f32 v27, v113, 2.0, -v20
	v_dual_sub_f32 v20, v11, v20 :: v_dual_mul_f32 v115, v32, v17
	v_add_f32_e32 v14, v21, v14
	v_mul_f32_e32 v93, v93, v104
	v_mul_f32_e32 v40, v40, v8
	;; [unrolled: 1-line block ×3, first 2 shown]
	v_dual_mul_f32 v50, v50, v22 :: v_dual_fmac_f32 v111, v39, v8
	v_fma_f32 v8, v29, v15, -v30
	v_dual_fmac_f32 v115, v31, v16 :: v_dual_fmac_f32 v118, v49, v22
	v_fma_f32 v16, v92, v105, -v93
	v_mul_f32_e32 v36, v36, v12
	v_fma_f32 v12, v49, v23, -v50
	v_mul_f32_e32 v48, v48, v102
	s_delay_alu instid0(VALU_DEP_4) | instskip(SKIP_2) | instid1(VALU_DEP_4)
	v_dual_sub_f32 v23, v110, v118 :: v_dual_sub_f32 v16, v8, v16
	v_mul_f32_e32 v54, v54, v18
	v_fma_f32 v3, v3, 2.0, -v11
	v_fma_f32 v15, v47, v103, -v48
	v_fma_f32 v11, v11, 2.0, -v20
	v_fma_f32 v8, v8, 2.0, -v16
	v_add_f32_e32 v16, v23, v16
	v_fmac_f32_e32 v91, v43, v4
	v_fma_f32 v4, v37, v7, -v38
	v_fma_f32 v7, v35, v13, -v36
	;; [unrolled: 1-line block ×3, first 2 shown]
	v_fmamk_f32 v34, v16, 0x3f3504f3, v14
	v_mul_f32_e32 v119, v52, v25
	v_mul_f32_e32 v52, v52, v24
	v_fmac_f32_e32 v112, v33, v10
	v_fma_f32 v9, v31, v17, -v32
	v_fma_f32 v10, v53, v19, -v54
	v_dual_fmac_f32 v119, v51, v24 :: v_dual_fmac_f32 v122, v45, v26
	v_fmac_f32_e32 v124, v92, v104
	v_sub_f32_e32 v17, v0, v115
	v_sub_f32_e32 v15, v7, v15
	s_delay_alu instid0(VALU_DEP_4)
	v_sub_f32_e32 v18, v111, v119
	v_fma_f32 v13, v51, v25, -v52
	v_sub_f32_e32 v10, v2, v10
	v_sub_f32_e32 v22, v112, v122
	;; [unrolled: 1-line block ×4, first 2 shown]
	v_fma_f32 v0, v0, 2.0, -v17
	v_fma_f32 v25, v111, 2.0, -v18
	;; [unrolled: 1-line block ×5, first 2 shown]
	v_sub_f32_e32 v22, v10, v22
	v_sub_f32_e32 v24, v12, v24
	;; [unrolled: 1-line block ×5, first 2 shown]
	v_fma_f32 v28, v28, 2.0, -v21
	v_fmamk_f32 v35, v24, 0x3f3504f3, v22
	v_fma_f32 v36, v0, 2.0, -v25
	v_add_f32_e32 v39, v25, v7
	v_fma_f32 v4, v4, 2.0, -v12
	v_fma_f32 v5, v5, 2.0, -v13
	v_fmac_f32_e32 v35, 0xbf3504f3, v16
	v_sub_f32_e32 v19, v91, v117
	v_fma_f32 v25, v25, 2.0, -v39
	v_sub_f32_e32 v9, v1, v9
	v_fma_f32 v2, v2, 2.0, -v10
	v_fma_f32 v30, v110, 2.0, -v23
	;; [unrolled: 1-line block ×3, first 2 shown]
	s_delay_alu instid0(VALU_DEP_4) | instskip(SKIP_2) | instid1(VALU_DEP_4)
	v_dual_add_f32 v15, v19, v15 :: v_dual_sub_f32 v18, v9, v18
	v_sub_f32_e32 v29, v28, v29
	v_fma_f32 v10, v10, 2.0, -v22
	v_dual_sub_f32 v27, v26, v27 :: v_dual_sub_f32 v8, v4, v8
	s_delay_alu instid0(VALU_DEP_4)
	v_fmamk_f32 v33, v20, 0x3f3504f3, v18
	v_fma_f32 v22, v22, 2.0, -v35
	v_add_f32_e32 v13, v17, v13
	v_fma_f32 v1, v1, 2.0, -v9
	v_fma_f32 v9, v9, 2.0, -v18
	;; [unrolled: 1-line block ×3, first 2 shown]
	v_sub_f32_e32 v6, v2, v6
	v_dual_sub_f32 v31, v30, v31 :: v_dual_fmamk_f32 v32, v15, 0x3f3504f3, v13
	v_fma_f32 v0, v26, 2.0, -v27
	v_fmac_f32_e32 v33, 0xbf3504f3, v15
	v_add_f32_e32 v15, v29, v8
	v_sub_f32_e32 v5, v1, v5
	v_fma_f32 v23, v23, 2.0, -v16
	v_fma_f32 v26, v28, 2.0, -v29
	;; [unrolled: 1-line block ×4, first 2 shown]
	v_dual_fmamk_f32 v38, v11, 0xbf3504f3, v9 :: v_dual_sub_f32 v31, v6, v31
	v_sub_f32_e32 v16, v36, v0
	v_fma_f32 v43, v18, 2.0, -v33
	v_fma_f32 v18, v29, 2.0, -v15
	v_fmamk_f32 v0, v15, 0x3f3504f3, v39
	v_fma_f32 v17, v17, 2.0, -v13
	v_fma_f32 v37, v1, 2.0, -v5
	;; [unrolled: 1-line block ×4, first 2 shown]
	v_fmac_f32_e32 v38, 0xbf3504f3, v19
	v_fmamk_f32 v30, v19, 0xbf3504f3, v17
	v_fma_f32 v19, v6, 2.0, -v31
	v_fmamk_f32 v4, v18, 0xbf3504f3, v25
	v_fma_f32 v12, v12, 2.0, -v24
	v_dual_fmac_f32 v32, 0x3f3504f3, v20 :: v_dual_sub_f32 v27, v5, v27
	v_fmac_f32_e32 v34, 0x3f3504f3, v24
	s_delay_alu instid0(VALU_DEP_4) | instskip(SKIP_4) | instid1(VALU_DEP_4)
	v_fmac_f32_e32 v4, 0x3f3504f3, v19
	v_fma_f32 v21, v21, 2.0, -v14
	v_fmamk_f32 v40, v12, 0xbf3504f3, v10
	v_sub_f32_e32 v24, v37, v1
	v_dual_fmac_f32 v30, 0x3f3504f3, v11 :: v_dual_sub_f32 v11, v26, v2
	v_fmamk_f32 v20, v23, 0xbf3504f3, v21
	v_sub_f32_e32 v8, v28, v3
	v_fmac_f32_e32 v40, 0xbf3504f3, v23
	v_fma_f32 v41, v5, 2.0, -v27
	v_fma_f32 v42, v13, 2.0, -v32
	v_fmac_f32_e32 v20, 0x3f3504f3, v12
	v_fma_f32 v23, v14, 2.0, -v34
	v_fmamk_f32 v1, v31, 0x3f3504f3, v27
	v_dual_fmamk_f32 v2, v34, 0x3f6c835e, v32 :: v_dual_fmamk_f32 v3, v35, 0x3f6c835e, v33
	v_fma_f32 v29, v36, 2.0, -v16
	v_fma_f32 v36, v37, 2.0, -v24
	;; [unrolled: 1-line block ×8, first 2 shown]
	v_fmamk_f32 v5, v19, 0xbf3504f3, v41
	v_dual_fmamk_f32 v6, v23, 0xbec3ef15, v42 :: v_dual_fmamk_f32 v7, v22, 0xbec3ef15, v43
	v_sub_f32_e32 v9, v24, v11
	v_fmamk_f32 v10, v20, 0x3ec3ef15, v30
	v_fmamk_f32 v11, v40, 0x3ec3ef15, v38
	v_fmac_f32_e32 v0, 0x3f3504f3, v31
	v_fmac_f32_e32 v1, 0xbf3504f3, v15
	;; [unrolled: 1-line block ×4, first 2 shown]
	v_dual_fmamk_f32 v14, v26, 0xbf6c835e, v37 :: v_dual_fmamk_f32 v15, v28, 0xbf6c835e, v44
	v_fmac_f32_e32 v5, 0xbf3504f3, v18
	v_fmac_f32_e32 v6, 0x3f6c835e, v22
	v_dual_fmac_f32 v7, 0xbf6c835e, v23 :: v_dual_add_f32 v8, v16, v8
	v_fmac_f32_e32 v10, 0x3f6c835e, v40
	v_fmac_f32_e32 v11, 0xbf6c835e, v20
	v_dual_sub_f32 v12, v29, v12 :: v_dual_sub_f32 v13, v36, v13
	v_fma_f32 v18, v39, 2.0, -v0
	v_fma_f32 v19, v27, 2.0, -v1
	;; [unrolled: 1-line block ×4, first 2 shown]
	v_fmac_f32_e32 v14, 0x3ec3ef15, v28
	v_fmac_f32_e32 v15, 0xbec3ef15, v26
	ds_store_2addr_stride64_b64 v138, v[0:1], v[2:3] offset0:56 offset1:60
	v_fma_f32 v2, v25, 2.0, -v4
	v_fma_f32 v3, v41, 2.0, -v5
	;; [unrolled: 1-line block ×10, first 2 shown]
	ds_store_2addr_stride64_b64 v138, v[18:19], v[20:21] offset0:24 offset1:28
	ds_store_2addr_stride64_b64 v138, v[4:5], v[6:7] offset0:40 offset1:44
	v_fma_f32 v4, v37, 2.0, -v14
	v_fma_f32 v5, v44, 2.0, -v15
	s_wait_alu 0xfffd
	v_add_co_ci_u32_e32 v99, vcc_lo, s1, v97, vcc_lo
	ds_store_2addr_stride64_b64 v138, v[8:9], v[10:11] offset0:48 offset1:52
	ds_store_2addr_stride64_b64 v138, v[2:3], v[22:23] offset0:8 offset1:12
	;; [unrolled: 1-line block ×4, first 2 shown]
	ds_store_2addr_stride64_b64 v138, v[0:1], v[4:5] offset1:4
	global_wb scope:SCOPE_SE
	s_wait_dscnt 0x0
	s_barrier_signal -1
	s_barrier_wait -1
	global_inv scope:SCOPE_SE
	ds_load_2addr_stride64_b64 v[0:3], v138 offset1:4
	ds_load_2addr_stride64_b64 v[8:11], v138 offset0:16 offset1:20
	ds_load_2addr_stride64_b64 v[12:15], v138 offset0:24 offset1:28
	;; [unrolled: 1-line block ×3, first 2 shown]
	v_add_co_u32 v100, vcc_lo, v98, s0
	s_wait_alu 0xfffd
	v_add_co_ci_u32_e32 v101, vcc_lo, s1, v99, vcc_lo
	ds_load_2addr_stride64_b64 v[16:19], v138 offset0:32 offset1:36
	ds_load_2addr_stride64_b64 v[20:23], v138 offset0:40 offset1:44
	;; [unrolled: 1-line block ×4, first 2 shown]
	v_add_co_u32 v89, vcc_lo, v100, s0
	s_wait_alu 0xfffd
	v_add_co_ci_u32_e32 v90, vcc_lo, s1, v101, vcc_lo
	s_delay_alu instid0(VALU_DEP_2) | instskip(SKIP_1) | instid1(VALU_DEP_2)
	v_add_co_u32 v106, vcc_lo, v89, s0
	s_wait_alu 0xfffd
	v_add_co_ci_u32_e32 v107, vcc_lo, s1, v90, vcc_lo
	s_delay_alu instid0(VALU_DEP_2) | instskip(SKIP_1) | instid1(VALU_DEP_2)
	v_add_co_u32 v108, vcc_lo, v106, s0
	s_wait_alu 0xfffd
	v_add_co_ci_u32_e32 v109, vcc_lo, s1, v107, vcc_lo
	s_wait_dscnt 0x7
	v_mul_f32_e32 v38, v58, v1
	s_wait_dscnt 0x6
	v_dual_mul_f32 v48, v68, v11 :: v_dual_mul_f32 v39, v58, v0
	v_mul_f32_e32 v40, v60, v3
	s_wait_dscnt 0x5
	v_dual_mul_f32 v50, v70, v13 :: v_dual_mul_f32 v41, v60, v2
	s_wait_dscnt 0x4
	v_mul_f32_e32 v42, v62, v5
	v_dual_mul_f32 v52, v72, v15 :: v_dual_mul_f32 v43, v62, v4
	v_add_co_u32 v32, vcc_lo, v108, s0
	v_mul_f32_e32 v44, v64, v7
	s_delay_alu instid0(VALU_DEP_3)
	v_fmac_f32_e32 v52, v71, v14
	s_wait_dscnt 0x3
	v_dual_mul_f32 v54, v74, v17 :: v_dual_mul_f32 v45, v64, v6
	v_mul_f32_e32 v46, v66, v9
	v_dual_mul_f32 v56, v76, v19 :: v_dual_mul_f32 v47, v66, v8
	s_wait_alu 0xfffd
	v_add_co_ci_u32_e32 v33, vcc_lo, s1, v109, vcc_lo
	v_mul_f32_e32 v58, v76, v18
	s_delay_alu instid0(VALU_DEP_3)
	v_fmac_f32_e32 v56, v75, v18
	s_wait_dscnt 0x2
	v_dual_mul_f32 v60, v78, v21 :: v_dual_mul_f32 v49, v68, v10
	v_mul_f32_e32 v62, v78, v20
	v_dual_mul_f32 v64, v80, v23 :: v_dual_mul_f32 v51, v70, v12
	v_mul_f32_e32 v66, v80, v22
	s_wait_dscnt 0x1
	v_dual_mul_f32 v68, v82, v25 :: v_dual_mul_f32 v53, v72, v14
	v_mul_f32_e32 v70, v82, v24
	v_dual_mul_f32 v72, v84, v27 :: v_dual_mul_f32 v55, v74, v16
	v_mul_f32_e32 v74, v84, v26
	s_wait_dscnt 0x0
	v_mul_f32_e32 v76, v86, v29
	v_mul_f32_e32 v78, v86, v28
	v_fmac_f32_e32 v72, v83, v26
	v_mul_f32_e32 v80, v88, v31
	v_mul_f32_e32 v82, v88, v30
	v_fmac_f32_e32 v38, v57, v0
	v_fmac_f32_e32 v48, v67, v10
	v_fma_f32 v1, v57, v1, -v39
	v_fmac_f32_e32 v40, v59, v2
	v_fmac_f32_e32 v50, v69, v12
	v_fma_f32 v3, v59, v3, -v41
	v_fmac_f32_e32 v42, v61, v4
	v_fma_f32 v5, v61, v5, -v43
	v_add_co_u32 v34, vcc_lo, v32, s0
	v_fmac_f32_e32 v44, v63, v6
	v_fmac_f32_e32 v54, v73, v16
	v_fma_f32 v7, v63, v7, -v45
	v_fmac_f32_e32 v46, v65, v8
	v_fma_f32 v9, v65, v9, -v47
	s_wait_alu 0xfffd
	v_add_co_ci_u32_e32 v35, vcc_lo, s1, v33, vcc_lo
	v_fma_f32 v17, v73, v17, -v55
	v_fma_f32 v19, v75, v19, -v58
	v_fmac_f32_e32 v60, v77, v20
	v_fma_f32 v11, v67, v11, -v49
	v_fma_f32 v21, v77, v21, -v62
	v_fmac_f32_e32 v64, v79, v22
	;; [unrolled: 3-line block ×3, first 2 shown]
	v_fma_f32 v15, v71, v15, -v53
	v_fma_f32 v25, v81, v25, -v70
	;; [unrolled: 1-line block ×3, first 2 shown]
	v_dual_fmac_f32 v76, v85, v28 :: v_dual_mul_f32 v1, 0x39800000, v1
	v_fma_f32 v29, v85, v29, -v78
	v_dual_fmac_f32 v80, v87, v30 :: v_dual_mul_f32 v3, 0x39800000, v3
	v_fma_f32 v31, v87, v31, -v82
	v_dual_mul_f32 v0, 0x39800000, v38 :: v_dual_mul_f32 v5, 0x39800000, v5
	v_dual_mul_f32 v2, 0x39800000, v40 :: v_dual_mul_f32 v7, 0x39800000, v7
	;; [unrolled: 1-line block ×3, first 2 shown]
	v_add_co_u32 v36, vcc_lo, v34, s0
	v_dual_mul_f32 v6, 0x39800000, v44 :: v_dual_mul_f32 v11, 0x39800000, v11
	v_dual_mul_f32 v8, 0x39800000, v46 :: v_dual_mul_f32 v13, 0x39800000, v13
	s_wait_alu 0xfffd
	v_add_co_ci_u32_e32 v37, vcc_lo, s1, v35, vcc_lo
	v_dual_mul_f32 v10, 0x39800000, v48 :: v_dual_mul_f32 v15, 0x39800000, v15
	v_dual_mul_f32 v12, 0x39800000, v50 :: v_dual_mul_f32 v17, 0x39800000, v17
	;; [unrolled: 1-line block ×9, first 2 shown]
	v_mul_f32_e32 v28, 0x39800000, v76
	v_mul_f32_e32 v30, 0x39800000, v80
	s_clause 0x4
	global_store_b64 v[120:121], v[0:1], off
	global_store_b64 v[126:127], v[2:3], off
	;; [unrolled: 1-line block ×16, first 2 shown]
.LBB0_2:
	s_nop 0
	s_sendmsg sendmsg(MSG_DEALLOC_VGPRS)
	s_endpgm
	.section	.rodata,"a",@progbits
	.p2align	6, 0x0
	.amdhsa_kernel bluestein_single_back_len4096_dim1_sp_op_CI_CI
		.amdhsa_group_segment_fixed_size 32768
		.amdhsa_private_segment_fixed_size 0
		.amdhsa_kernarg_size 104
		.amdhsa_user_sgpr_count 2
		.amdhsa_user_sgpr_dispatch_ptr 0
		.amdhsa_user_sgpr_queue_ptr 0
		.amdhsa_user_sgpr_kernarg_segment_ptr 1
		.amdhsa_user_sgpr_dispatch_id 0
		.amdhsa_user_sgpr_private_segment_size 0
		.amdhsa_wavefront_size32 1
		.amdhsa_uses_dynamic_stack 0
		.amdhsa_enable_private_segment 0
		.amdhsa_system_sgpr_workgroup_id_x 1
		.amdhsa_system_sgpr_workgroup_id_y 0
		.amdhsa_system_sgpr_workgroup_id_z 0
		.amdhsa_system_sgpr_workgroup_info 0
		.amdhsa_system_vgpr_workitem_id 0
		.amdhsa_next_free_vgpr 177
		.amdhsa_next_free_sgpr 20
		.amdhsa_reserve_vcc 1
		.amdhsa_float_round_mode_32 0
		.amdhsa_float_round_mode_16_64 0
		.amdhsa_float_denorm_mode_32 3
		.amdhsa_float_denorm_mode_16_64 3
		.amdhsa_fp16_overflow 0
		.amdhsa_workgroup_processor_mode 1
		.amdhsa_memory_ordered 1
		.amdhsa_forward_progress 0
		.amdhsa_round_robin_scheduling 0
		.amdhsa_exception_fp_ieee_invalid_op 0
		.amdhsa_exception_fp_denorm_src 0
		.amdhsa_exception_fp_ieee_div_zero 0
		.amdhsa_exception_fp_ieee_overflow 0
		.amdhsa_exception_fp_ieee_underflow 0
		.amdhsa_exception_fp_ieee_inexact 0
		.amdhsa_exception_int_div_zero 0
	.end_amdhsa_kernel
	.text
.Lfunc_end0:
	.size	bluestein_single_back_len4096_dim1_sp_op_CI_CI, .Lfunc_end0-bluestein_single_back_len4096_dim1_sp_op_CI_CI
                                        ; -- End function
	.section	.AMDGPU.csdata,"",@progbits
; Kernel info:
; codeLenInByte = 12060
; NumSgprs: 22
; NumVgprs: 177
; ScratchSize: 0
; MemoryBound: 0
; FloatMode: 240
; IeeeMode: 1
; LDSByteSize: 32768 bytes/workgroup (compile time only)
; SGPRBlocks: 2
; VGPRBlocks: 22
; NumSGPRsForWavesPerEU: 22
; NumVGPRsForWavesPerEU: 177
; Occupancy: 8
; WaveLimiterHint : 1
; COMPUTE_PGM_RSRC2:SCRATCH_EN: 0
; COMPUTE_PGM_RSRC2:USER_SGPR: 2
; COMPUTE_PGM_RSRC2:TRAP_HANDLER: 0
; COMPUTE_PGM_RSRC2:TGID_X_EN: 1
; COMPUTE_PGM_RSRC2:TGID_Y_EN: 0
; COMPUTE_PGM_RSRC2:TGID_Z_EN: 0
; COMPUTE_PGM_RSRC2:TIDIG_COMP_CNT: 0
	.text
	.p2alignl 7, 3214868480
	.fill 96, 4, 3214868480
	.type	__hip_cuid_824b88b56400a000,@object ; @__hip_cuid_824b88b56400a000
	.section	.bss,"aw",@nobits
	.globl	__hip_cuid_824b88b56400a000
__hip_cuid_824b88b56400a000:
	.byte	0                               ; 0x0
	.size	__hip_cuid_824b88b56400a000, 1

	.ident	"AMD clang version 19.0.0git (https://github.com/RadeonOpenCompute/llvm-project roc-6.4.0 25133 c7fe45cf4b819c5991fe208aaa96edf142730f1d)"
	.section	".note.GNU-stack","",@progbits
	.addrsig
	.addrsig_sym __hip_cuid_824b88b56400a000
	.amdgpu_metadata
---
amdhsa.kernels:
  - .args:
      - .actual_access:  read_only
        .address_space:  global
        .offset:         0
        .size:           8
        .value_kind:     global_buffer
      - .actual_access:  read_only
        .address_space:  global
        .offset:         8
        .size:           8
        .value_kind:     global_buffer
      - .actual_access:  read_only
        .address_space:  global
        .offset:         16
        .size:           8
        .value_kind:     global_buffer
      - .actual_access:  read_only
        .address_space:  global
        .offset:         24
        .size:           8
        .value_kind:     global_buffer
      - .actual_access:  read_only
        .address_space:  global
        .offset:         32
        .size:           8
        .value_kind:     global_buffer
      - .offset:         40
        .size:           8
        .value_kind:     by_value
      - .address_space:  global
        .offset:         48
        .size:           8
        .value_kind:     global_buffer
      - .address_space:  global
        .offset:         56
        .size:           8
        .value_kind:     global_buffer
      - .address_space:  global
        .offset:         64
        .size:           8
        .value_kind:     global_buffer
      - .address_space:  global
        .offset:         72
        .size:           8
        .value_kind:     global_buffer
      - .offset:         80
        .size:           4
        .value_kind:     by_value
      - .address_space:  global
        .offset:         88
        .size:           8
        .value_kind:     global_buffer
      - .address_space:  global
        .offset:         96
        .size:           8
        .value_kind:     global_buffer
    .group_segment_fixed_size: 32768
    .kernarg_segment_align: 8
    .kernarg_segment_size: 104
    .language:       OpenCL C
    .language_version:
      - 2
      - 0
    .max_flat_workgroup_size: 256
    .name:           bluestein_single_back_len4096_dim1_sp_op_CI_CI
    .private_segment_fixed_size: 0
    .sgpr_count:     22
    .sgpr_spill_count: 0
    .symbol:         bluestein_single_back_len4096_dim1_sp_op_CI_CI.kd
    .uniform_work_group_size: 1
    .uses_dynamic_stack: false
    .vgpr_count:     177
    .vgpr_spill_count: 0
    .wavefront_size: 32
    .workgroup_processor_mode: 1
amdhsa.target:   amdgcn-amd-amdhsa--gfx1201
amdhsa.version:
  - 1
  - 2
...

	.end_amdgpu_metadata
